;; amdgpu-corpus repo=ROCm/rocFFT kind=compiled arch=gfx906 opt=O3
	.text
	.amdgcn_target "amdgcn-amd-amdhsa--gfx906"
	.amdhsa_code_object_version 6
	.protected	fft_rtc_fwd_len1020_factors_2_17_2_3_5_wgs_204_tpt_68_halfLds_sp_op_CI_CI_unitstride_sbrr_dirReg ; -- Begin function fft_rtc_fwd_len1020_factors_2_17_2_3_5_wgs_204_tpt_68_halfLds_sp_op_CI_CI_unitstride_sbrr_dirReg
	.globl	fft_rtc_fwd_len1020_factors_2_17_2_3_5_wgs_204_tpt_68_halfLds_sp_op_CI_CI_unitstride_sbrr_dirReg
	.p2align	8
	.type	fft_rtc_fwd_len1020_factors_2_17_2_3_5_wgs_204_tpt_68_halfLds_sp_op_CI_CI_unitstride_sbrr_dirReg,@function
fft_rtc_fwd_len1020_factors_2_17_2_3_5_wgs_204_tpt_68_halfLds_sp_op_CI_CI_unitstride_sbrr_dirReg: ; @fft_rtc_fwd_len1020_factors_2_17_2_3_5_wgs_204_tpt_68_halfLds_sp_op_CI_CI_unitstride_sbrr_dirReg
; %bb.0:
	v_mul_u32_u24_e32 v1, 0x3c4, v0
	s_load_dwordx4 s[8:11], s[4:5], 0x58
	s_load_dwordx4 s[12:15], s[4:5], 0x0
	;; [unrolled: 1-line block ×3, first 2 shown]
	v_lshrrev_b32_e32 v1, 16, v1
	v_mad_u64_u32 v[5:6], s[0:1], s6, 3, v[1:2]
	v_mov_b32_e32 v9, 0
	s_waitcnt lgkmcnt(0)
	v_cmp_lt_u64_e64 s[0:1], s[14:15], 2
	v_mov_b32_e32 v7, 0
	v_mov_b32_e32 v6, v9
	;; [unrolled: 1-line block ×5, first 2 shown]
	s_and_b64 vcc, exec, s[0:1]
	v_mov_b32_e32 v2, v8
	v_mov_b32_e32 v4, v6
	s_cbranch_vccnz .LBB0_8
; %bb.1:
	s_load_dwordx2 s[0:1], s[4:5], 0x10
	s_add_u32 s2, s18, 8
	s_addc_u32 s3, s19, 0
	s_add_u32 s6, s16, 8
	s_addc_u32 s7, s17, 0
	v_mov_b32_e32 v7, 0
	s_waitcnt lgkmcnt(0)
	s_add_u32 s20, s0, 8
	v_mov_b32_e32 v8, 0
	v_mov_b32_e32 v1, v7
	;; [unrolled: 1-line block ×3, first 2 shown]
	s_addc_u32 s21, s1, 0
	s_mov_b64 s[22:23], 1
	v_mov_b32_e32 v2, v8
	v_mov_b32_e32 v11, v5
.LBB0_2:                                ; =>This Inner Loop Header: Depth=1
	s_load_dwordx2 s[24:25], s[20:21], 0x0
                                        ; implicit-def: $vgpr3_vgpr4
	s_waitcnt lgkmcnt(0)
	v_or_b32_e32 v10, s25, v12
	v_cmp_ne_u64_e32 vcc, 0, v[9:10]
	s_and_saveexec_b64 s[0:1], vcc
	s_xor_b64 s[26:27], exec, s[0:1]
	s_cbranch_execz .LBB0_4
; %bb.3:                                ;   in Loop: Header=BB0_2 Depth=1
	v_cvt_f32_u32_e32 v3, s24
	v_cvt_f32_u32_e32 v4, s25
	s_sub_u32 s0, 0, s24
	s_subb_u32 s1, 0, s25
	v_mac_f32_e32 v3, 0x4f800000, v4
	v_rcp_f32_e32 v3, v3
	v_mul_f32_e32 v3, 0x5f7ffffc, v3
	v_mul_f32_e32 v4, 0x2f800000, v3
	v_trunc_f32_e32 v4, v4
	v_mac_f32_e32 v3, 0xcf800000, v4
	v_cvt_u32_f32_e32 v4, v4
	v_cvt_u32_f32_e32 v3, v3
	v_mul_lo_u32 v6, s0, v4
	v_mul_hi_u32 v10, s0, v3
	v_mul_lo_u32 v14, s1, v3
	v_mul_lo_u32 v13, s0, v3
	v_add_u32_e32 v6, v10, v6
	v_add_u32_e32 v6, v6, v14
	v_mul_hi_u32 v10, v3, v13
	v_mul_lo_u32 v14, v3, v6
	v_mul_hi_u32 v16, v3, v6
	v_mul_hi_u32 v15, v4, v13
	v_mul_lo_u32 v13, v4, v13
	v_mul_hi_u32 v17, v4, v6
	v_add_co_u32_e32 v10, vcc, v10, v14
	v_addc_co_u32_e32 v14, vcc, 0, v16, vcc
	v_mul_lo_u32 v6, v4, v6
	v_add_co_u32_e32 v10, vcc, v10, v13
	v_addc_co_u32_e32 v10, vcc, v14, v15, vcc
	v_addc_co_u32_e32 v13, vcc, 0, v17, vcc
	v_add_co_u32_e32 v6, vcc, v10, v6
	v_addc_co_u32_e32 v10, vcc, 0, v13, vcc
	v_add_co_u32_e32 v3, vcc, v3, v6
	v_addc_co_u32_e32 v4, vcc, v4, v10, vcc
	v_mul_lo_u32 v6, s0, v4
	v_mul_hi_u32 v10, s0, v3
	v_mul_lo_u32 v13, s1, v3
	v_mul_lo_u32 v14, s0, v3
	v_add_u32_e32 v6, v10, v6
	v_add_u32_e32 v6, v6, v13
	v_mul_lo_u32 v15, v3, v6
	v_mul_hi_u32 v16, v3, v14
	v_mul_hi_u32 v17, v3, v6
	;; [unrolled: 1-line block ×3, first 2 shown]
	v_mul_lo_u32 v14, v4, v14
	v_mul_hi_u32 v10, v4, v6
	v_add_co_u32_e32 v15, vcc, v16, v15
	v_addc_co_u32_e32 v16, vcc, 0, v17, vcc
	v_mul_lo_u32 v6, v4, v6
	v_add_co_u32_e32 v14, vcc, v15, v14
	v_addc_co_u32_e32 v13, vcc, v16, v13, vcc
	v_addc_co_u32_e32 v10, vcc, 0, v10, vcc
	v_add_co_u32_e32 v6, vcc, v13, v6
	v_addc_co_u32_e32 v10, vcc, 0, v10, vcc
	v_add_co_u32_e32 v6, vcc, v3, v6
	v_addc_co_u32_e32 v10, vcc, v4, v10, vcc
	v_mad_u64_u32 v[3:4], s[0:1], v11, v10, 0
	v_mul_hi_u32 v13, v11, v6
	v_add_co_u32_e32 v15, vcc, v13, v3
	v_addc_co_u32_e32 v16, vcc, 0, v4, vcc
	v_mad_u64_u32 v[3:4], s[0:1], v12, v6, 0
	v_mad_u64_u32 v[13:14], s[0:1], v12, v10, 0
	v_add_co_u32_e32 v3, vcc, v15, v3
	v_addc_co_u32_e32 v3, vcc, v16, v4, vcc
	v_addc_co_u32_e32 v4, vcc, 0, v14, vcc
	v_add_co_u32_e32 v6, vcc, v3, v13
	v_addc_co_u32_e32 v10, vcc, 0, v4, vcc
	v_mul_lo_u32 v13, s25, v6
	v_mul_lo_u32 v14, s24, v10
	v_mad_u64_u32 v[3:4], s[0:1], s24, v6, 0
	v_add3_u32 v4, v4, v14, v13
	v_sub_u32_e32 v13, v12, v4
	v_mov_b32_e32 v14, s25
	v_sub_co_u32_e32 v3, vcc, v11, v3
	v_subb_co_u32_e64 v13, s[0:1], v13, v14, vcc
	v_subrev_co_u32_e64 v14, s[0:1], s24, v3
	v_subbrev_co_u32_e64 v13, s[0:1], 0, v13, s[0:1]
	v_cmp_le_u32_e64 s[0:1], s25, v13
	v_cndmask_b32_e64 v15, 0, -1, s[0:1]
	v_cmp_le_u32_e64 s[0:1], s24, v14
	v_cndmask_b32_e64 v14, 0, -1, s[0:1]
	v_cmp_eq_u32_e64 s[0:1], s25, v13
	v_cndmask_b32_e64 v13, v15, v14, s[0:1]
	v_add_co_u32_e64 v14, s[0:1], 2, v6
	v_addc_co_u32_e64 v15, s[0:1], 0, v10, s[0:1]
	v_add_co_u32_e64 v16, s[0:1], 1, v6
	v_addc_co_u32_e64 v17, s[0:1], 0, v10, s[0:1]
	v_subb_co_u32_e32 v4, vcc, v12, v4, vcc
	v_cmp_ne_u32_e64 s[0:1], 0, v13
	v_cmp_le_u32_e32 vcc, s25, v4
	v_cndmask_b32_e64 v13, v17, v15, s[0:1]
	v_cndmask_b32_e64 v15, 0, -1, vcc
	v_cmp_le_u32_e32 vcc, s24, v3
	v_cndmask_b32_e64 v3, 0, -1, vcc
	v_cmp_eq_u32_e32 vcc, s25, v4
	v_cndmask_b32_e32 v3, v15, v3, vcc
	v_cmp_ne_u32_e32 vcc, 0, v3
	v_cndmask_b32_e64 v3, v16, v14, s[0:1]
	v_cndmask_b32_e32 v4, v10, v13, vcc
	v_cndmask_b32_e32 v3, v6, v3, vcc
.LBB0_4:                                ;   in Loop: Header=BB0_2 Depth=1
	s_andn2_saveexec_b64 s[0:1], s[26:27]
	s_cbranch_execz .LBB0_6
; %bb.5:                                ;   in Loop: Header=BB0_2 Depth=1
	v_cvt_f32_u32_e32 v3, s24
	s_sub_i32 s26, 0, s24
	v_rcp_iflag_f32_e32 v3, v3
	v_mul_f32_e32 v3, 0x4f7ffffe, v3
	v_cvt_u32_f32_e32 v3, v3
	v_mul_lo_u32 v4, s26, v3
	v_mul_hi_u32 v4, v3, v4
	v_add_u32_e32 v3, v3, v4
	v_mul_hi_u32 v3, v11, v3
	v_mul_lo_u32 v4, v3, s24
	v_add_u32_e32 v6, 1, v3
	v_sub_u32_e32 v4, v11, v4
	v_subrev_u32_e32 v10, s24, v4
	v_cmp_le_u32_e32 vcc, s24, v4
	v_cndmask_b32_e32 v4, v4, v10, vcc
	v_cndmask_b32_e32 v3, v3, v6, vcc
	v_add_u32_e32 v6, 1, v3
	v_cmp_le_u32_e32 vcc, s24, v4
	v_cndmask_b32_e32 v3, v3, v6, vcc
	v_mov_b32_e32 v4, v9
.LBB0_6:                                ;   in Loop: Header=BB0_2 Depth=1
	s_or_b64 exec, exec, s[0:1]
	v_mul_lo_u32 v6, v4, s24
	v_mul_lo_u32 v10, v3, s25
	v_mad_u64_u32 v[13:14], s[0:1], v3, s24, 0
	s_load_dwordx2 s[0:1], s[6:7], 0x0
	s_load_dwordx2 s[24:25], s[2:3], 0x0
	v_add3_u32 v6, v14, v10, v6
	v_sub_co_u32_e32 v10, vcc, v11, v13
	v_subb_co_u32_e32 v6, vcc, v12, v6, vcc
	s_waitcnt lgkmcnt(0)
	v_mul_lo_u32 v11, s0, v6
	v_mul_lo_u32 v12, s1, v10
	v_mad_u64_u32 v[7:8], s[0:1], s0, v10, v[7:8]
	s_add_u32 s22, s22, 1
	s_addc_u32 s23, s23, 0
	s_add_u32 s2, s2, 8
	v_mul_lo_u32 v6, s24, v6
	v_mul_lo_u32 v13, s25, v10
	v_mad_u64_u32 v[1:2], s[0:1], s24, v10, v[1:2]
	v_add3_u32 v8, v12, v8, v11
	s_addc_u32 s3, s3, 0
	v_mov_b32_e32 v10, s14
	s_add_u32 s6, s6, 8
	v_mov_b32_e32 v11, s15
	s_addc_u32 s7, s7, 0
	v_cmp_ge_u64_e32 vcc, s[22:23], v[10:11]
	s_add_u32 s20, s20, 8
	v_add3_u32 v2, v13, v2, v6
	s_addc_u32 s21, s21, 0
	s_cbranch_vccnz .LBB0_8
; %bb.7:                                ;   in Loop: Header=BB0_2 Depth=1
	v_mov_b32_e32 v12, v4
	v_mov_b32_e32 v11, v3
	s_branch .LBB0_2
.LBB0_8:
	s_load_dwordx2 s[2:3], s[4:5], 0x28
	s_lshl_b64 s[6:7], s[14:15], 3
	s_add_u32 s4, s18, s6
	s_addc_u32 s5, s19, s7
                                        ; implicit-def: $sgpr14
                                        ; implicit-def: $vgpr57
	s_waitcnt lgkmcnt(0)
	v_cmp_gt_u64_e64 s[0:1], s[2:3], v[3:4]
	v_cmp_le_u64_e32 vcc, s[2:3], v[3:4]
	s_and_saveexec_b64 s[2:3], vcc
	s_xor_b64 s[2:3], exec, s[2:3]
; %bb.9:
	s_mov_b32 s14, 0x3c3c3c4
	v_mul_hi_u32 v6, v0, s14
	s_mov_b32 s14, 0
                                        ; implicit-def: $vgpr7_vgpr8
	v_mul_u32_u24_e32 v6, 0x44, v6
	v_sub_u32_e32 v57, v0, v6
                                        ; implicit-def: $vgpr0
; %bb.10:
	s_or_saveexec_b64 s[2:3], s[2:3]
	s_load_dwordx2 s[4:5], s[4:5], 0x0
	v_mov_b32_e32 v34, s14
	v_mov_b32_e32 v33, s14
                                        ; implicit-def: $vgpr32
                                        ; implicit-def: $vgpr40
                                        ; implicit-def: $vgpr36
                                        ; implicit-def: $vgpr26
                                        ; implicit-def: $vgpr38
                                        ; implicit-def: $vgpr28
                                        ; implicit-def: $vgpr42
                                        ; implicit-def: $vgpr30
                                        ; implicit-def: $vgpr44
                                        ; implicit-def: $vgpr52
                                        ; implicit-def: $vgpr54
                                        ; implicit-def: $vgpr56
                                        ; implicit-def: $vgpr46
                                        ; implicit-def: $vgpr48
                                        ; implicit-def: $vgpr50
	s_xor_b64 exec, exec, s[2:3]
	s_cbranch_execz .LBB0_14
; %bb.11:
	s_add_u32 s6, s16, s6
	s_addc_u32 s7, s17, s7
	s_load_dwordx2 s[6:7], s[6:7], 0x0
	s_mov_b32 s14, 0x3c3c3c4
	v_mul_hi_u32 v6, v0, s14
	v_mov_b32_e32 v33, 0
	v_mov_b32_e32 v34, 0
	s_waitcnt lgkmcnt(0)
	v_mul_lo_u32 v11, s7, v3
	v_mul_lo_u32 v12, s6, v4
	v_mad_u64_u32 v[9:10], s[6:7], s6, v3, 0
	v_mul_u32_u24_e32 v6, 0x44, v6
	v_sub_u32_e32 v57, v0, v6
	v_add3_u32 v10, v10, v12, v11
	v_lshlrev_b64 v[9:10], 3, v[9:10]
	v_mov_b32_e32 v0, s9
	v_add_co_u32_e32 v9, vcc, s8, v9
	v_lshlrev_b64 v[6:7], 3, v[7:8]
	v_addc_co_u32_e32 v0, vcc, v0, v10, vcc
	v_add_co_u32_e32 v6, vcc, v9, v6
	v_addc_co_u32_e32 v0, vcc, v0, v7, vcc
	v_lshlrev_b32_e32 v7, 3, v57
	v_add_co_u32_e32 v6, vcc, v6, v7
	v_addc_co_u32_e32 v7, vcc, 0, v0, vcc
	s_movk_i32 s6, 0x1000
	v_add_co_u32_e32 v8, vcc, s6, v6
	v_addc_co_u32_e32 v9, vcc, 0, v7, vcc
	global_load_dwordx2 v[25:26], v[8:9], off offset:528
	global_load_dwordx2 v[27:28], v[8:9], off offset:1072
	;; [unrolled: 1-line block ×6, first 2 shown]
	global_load_dwordx2 v[31:32], v[6:7], off
	global_load_dwordx2 v[35:36], v[6:7], off offset:544
	global_load_dwordx2 v[37:38], v[6:7], off offset:1088
	;; [unrolled: 1-line block ×7, first 2 shown]
	v_cmp_gt_u32_e32 vcc, 34, v57
                                        ; implicit-def: $vgpr55
	s_and_saveexec_b64 s[6:7], vcc
	s_cbranch_execz .LBB0_13
; %bb.12:
	v_add_co_u32_e32 v8, vcc, 0x1000, v6
	v_addc_co_u32_e32 v9, vcc, 0, v7, vcc
	global_load_dwordx2 v[33:34], v[6:7], off offset:3808
	global_load_dwordx2 v[55:56], v[8:9], off offset:3792
.LBB0_13:
	s_or_b64 exec, exec, s[6:7]
.LBB0_14:
	s_or_b64 exec, exec, s[2:3]
	s_mov_b32 s2, 0xaaaaaaab
	v_mul_hi_u32 v0, v5, s2
	s_waitcnt vmcnt(5)
	v_sub_f32_e32 v23, v37, v27
	s_waitcnt vmcnt(3)
	v_sub_f32_e32 v19, v43, v49
	v_fma_f32 v22, v37, 2.0, -v23
	v_lshrrev_b32_e32 v0, 1, v0
	v_lshl_add_u32 v0, v0, 1, v0
	v_sub_u32_e32 v0, v5, v0
	v_mul_u32_u24_e32 v0, 0x3fc, v0
	v_lshlrev_b32_e32 v49, 2, v0
	v_lshlrev_b32_e32 v0, 3, v57
	v_add3_u32 v37, 0, v0, v49
	v_add_u32_e32 v0, 0x44, v57
	s_waitcnt vmcnt(2)
	v_sub_f32_e32 v17, v51, v47
	s_waitcnt vmcnt(0)
	v_sub_f32_e32 v15, v53, v45
	v_lshlrev_b32_e32 v5, 3, v0
	v_add_u32_e32 v47, 0x88, v57
	v_fma_f32 v14, v53, 2.0, -v15
	v_add3_u32 v58, 0, v5, v49
	v_lshlrev_b32_e32 v5, 3, v47
	v_add_u32_e32 v53, 0xcc, v57
	v_fma_f32 v16, v51, 2.0, -v17
	v_add3_u32 v59, 0, v5, v49
	v_lshlrev_b32_e32 v5, 3, v53
	v_add_u32_e32 v51, 0x110, v57
	v_add3_u32 v60, 0, v5, v49
	v_lshlrev_b32_e32 v5, 3, v51
	v_add_u32_e32 v45, 0x154, v57
	v_fma_f32 v18, v43, 2.0, -v19
	v_add3_u32 v61, 0, v5, v49
	v_lshlrev_b32_e32 v5, 3, v45
	v_add_u32_e32 v43, 0x198, v57
	v_sub_f32_e32 v9, v31, v39
	v_sub_f32_e32 v11, v35, v25
	;; [unrolled: 1-line block ×4, first 2 shown]
	v_add3_u32 v62, 0, v5, v49
	v_lshlrev_b32_e32 v5, 3, v43
	v_add_u32_e32 v55, 0x1dc, v57
	v_fma_f32 v8, v31, 2.0, -v9
	v_fma_f32 v10, v35, 2.0, -v11
	;; [unrolled: 1-line block ×4, first 2 shown]
	v_add3_u32 v63, 0, v5, v49
	v_cmp_gt_u32_e32 vcc, 34, v57
	v_lshlrev_b32_e32 v64, 3, v55
	ds_write_b64 v37, v[8:9]
	ds_write_b64 v58, v[10:11]
	;; [unrolled: 1-line block ×7, first 2 shown]
	s_and_saveexec_b64 s[2:3], vcc
	s_cbranch_execz .LBB0_16
; %bb.15:
	v_add3_u32 v5, 0, v64, v49
	ds_write_b64 v5, v[12:13]
.LBB0_16:
	s_or_b64 exec, exec, s[2:3]
	v_cmp_gt_u32_e64 s[2:3], 60, v57
	v_lshlrev_b32_e32 v5, 2, v57
	s_waitcnt lgkmcnt(0)
	s_barrier
	s_waitcnt lgkmcnt(0)
                                        ; implicit-def: $vgpr25
	s_and_saveexec_b64 s[6:7], s[2:3]
	s_cbranch_execz .LBB0_18
; %bb.17:
	v_add3_u32 v9, 0, v5, v49
	v_add3_u32 v6, 0, v49, v5
	v_add_u32_e32 v10, 0x400, v9
	ds_read_b32 v8, v6
	ds_read2_b32 v[6:7], v9 offset0:60 offset1:120
	ds_read2_b32 v[11:12], v9 offset0:180 offset1:240
	;; [unrolled: 1-line block ×4, first 2 shown]
	v_add_u32_e32 v10, 0x800, v9
	v_add_u32_e32 v9, 0xc00, v9
	ds_read2_b32 v[65:66], v10 offset0:28 offset1:88
	ds_read2_b32 v[67:68], v10 offset0:148 offset1:208
	;; [unrolled: 1-line block ×4, first 2 shown]
	s_waitcnt lgkmcnt(7)
	v_mov_b32_e32 v9, v6
	v_mov_b32_e32 v10, v7
	s_waitcnt lgkmcnt(6)
	v_mov_b32_e32 v22, v12
	s_waitcnt lgkmcnt(5)
	v_mov_b32_e32 v23, v13
	v_mov_b32_e32 v20, v14
	s_waitcnt lgkmcnt(4)
	v_mov_b32_e32 v21, v15
	;; [unrolled: 3-line block ×3, first 2 shown]
	s_waitcnt lgkmcnt(2)
	v_mov_b32_e32 v14, v68
	s_waitcnt lgkmcnt(1)
	v_mov_b32_e32 v12, v70
	;; [unrolled: 2-line block ×3, first 2 shown]
	v_mov_b32_e32 v15, v69
	v_mov_b32_e32 v17, v67
	;; [unrolled: 1-line block ×3, first 2 shown]
.LBB0_18:
	s_or_b64 exec, exec, s[6:7]
	v_sub_f32_e32 v41, v36, v26
	v_sub_f32_e32 v7, v32, v40
	v_fma_f32 v40, v36, 2.0, -v41
	v_sub_f32_e32 v39, v38, v28
	v_sub_f32_e32 v36, v42, v30
	;; [unrolled: 1-line block ×6, first 2 shown]
	v_fma_f32 v6, v32, 2.0, -v7
	v_fma_f32 v38, v38, 2.0, -v39
	;; [unrolled: 1-line block ×7, first 2 shown]
	s_barrier
	ds_write_b64 v37, v[6:7]
	ds_write_b64 v58, v[40:41]
	;; [unrolled: 1-line block ×7, first 2 shown]
	s_and_saveexec_b64 s[6:7], vcc
	s_cbranch_execz .LBB0_20
; %bb.19:
	v_add3_u32 v24, 0, v64, v49
	ds_write_b64 v24, v[26:27]
.LBB0_20:
	s_or_b64 exec, exec, s[6:7]
	s_waitcnt lgkmcnt(0)
	s_barrier
	s_waitcnt lgkmcnt(0)
                                        ; implicit-def: $vgpr34
	s_and_saveexec_b64 s[6:7], s[2:3]
	s_cbranch_execz .LBB0_22
; %bb.21:
	v_add3_u32 v7, 0, v5, v49
	v_add3_u32 v6, 0, v49, v5
	v_add_u32_e32 v24, 0x400, v7
	ds_read_b32 v6, v6
	ds_read2_b32 v[58:59], v7 offset0:60 offset1:120
	ds_read2_b32 v[37:38], v7 offset0:180 offset1:240
	;; [unrolled: 1-line block ×4, first 2 shown]
	v_add_u32_e32 v24, 0x800, v7
	v_add_u32_e32 v7, 0xc00, v7
	ds_read2_b32 v[41:42], v24 offset0:28 offset1:88
	ds_read2_b32 v[60:61], v24 offset0:148 offset1:208
	;; [unrolled: 1-line block ×4, first 2 shown]
	s_waitcnt lgkmcnt(4)
	v_mov_b32_e32 v36, v26
	v_mov_b32_e32 v32, v27
	s_waitcnt lgkmcnt(3)
	v_mov_b32_e32 v30, v42
	s_waitcnt lgkmcnt(2)
	;; [unrolled: 2-line block ×4, first 2 shown]
	v_mov_b32_e32 v27, v33
	v_mov_b32_e32 v29, v62
	;; [unrolled: 1-line block ×8, first 2 shown]
.LBB0_22:
	s_or_b64 exec, exec, s[6:7]
	v_and_b32_e32 v24, 1, v57
	v_lshlrev_b32_e32 v37, 7, v24
	global_load_dwordx4 v[70:73], v37, s[12:13]
	global_load_dwordx4 v[74:77], v37, s[12:13] offset:16
	global_load_dwordx4 v[78:81], v37, s[12:13] offset:32
	global_load_dwordx4 v[82:85], v37, s[12:13] offset:48
	global_load_dwordx4 v[86:89], v37, s[12:13] offset:64
	global_load_dwordx4 v[90:93], v37, s[12:13] offset:80
	global_load_dwordx4 v[94:97], v37, s[12:13] offset:96
	global_load_dwordx4 v[98:101], v37, s[12:13] offset:112
	s_mov_b32 s18, 0x3f3d2fb0
	s_mov_b32 s16, 0x3ee437d1
	s_mov_b32 s15, 0x3dbcf732
	s_mov_b32 s9, 0xbf1a4643
	s_mov_b32 s8, 0xbf7ba420
	s_mov_b32 s17, 0xbe8c1d8e
	s_mov_b32 s14, 0xbf59a7d5
	s_mov_b32 s19, 0x3f6eb680
	s_waitcnt vmcnt(0)
	s_barrier
	v_mul_f32_e32 v48, v7, v71
	v_mul_f32_e32 v37, v9, v71
	v_mul_f32_e32 v42, v10, v73
	v_mul_f32_e32 v52, v41, v75
	v_fmac_f32_e32 v37, v7, v70
	v_mul_f32_e32 v44, v11, v75
	v_mul_f32_e32 v54, v38, v77
	;; [unrolled: 1-line block ×4, first 2 shown]
	v_fmac_f32_e32 v71, v34, v100
	v_mul_f32_e32 v46, v22, v77
	v_mul_f32_e32 v62, v39, v79
	;; [unrolled: 1-line block ×21, first 2 shown]
	v_fmac_f32_e32 v42, v40, v72
	v_fma_f32 v69, v11, v74, -v52
	v_fmac_f32_e32 v68, v27, v98
	v_sub_f32_e32 v11, v37, v71
	v_mul_f32_e32 v50, v40, v73
	v_mul_f32_e32 v64, v17, v91
	v_mul_f32_e32 v91, v26, v97
	v_fma_f32 v73, v9, v70, -v48
	v_fmac_f32_e32 v63, v30, v88
	v_fma_f32 v30, v17, v90, -v85
	v_fmac_f32_e32 v67, v26, v96
	v_fma_f32 v26, v13, v98, -v93
	v_fma_f32 v25, v25, v100, -v95
	v_sub_f32_e32 v13, v42, v68
	v_mul_f32_e32 v17, 0xbf2c7751, v11
	v_fma_f32 v70, v10, v72, -v50
	v_fmac_f32_e32 v46, v38, v76
	v_fma_f32 v38, v20, v80, -v75
	v_fma_f32 v20, v18, v84, -v79
	v_add_f32_e32 v7, v73, v25
	v_mul_f32_e32 v18, 0xbf7ee86f, v13
	v_mov_b32_e32 v10, v17
	v_fmac_f32_e32 v56, v39, v78
	v_fmac_f32_e32 v64, v31, v90
	v_fma_f32 v31, v14, v92, -v87
	v_add_f32_e32 v9, v70, v26
	v_mul_f32_e32 v39, 0xbf65296c, v11
	v_mov_b32_e32 v14, v18
	v_fmac_f32_e32 v10, 0x3f3d2fb0, v7
	v_fmac_f32_e32 v44, v41, v74
	v_fma_f32 v40, v23, v78, -v62
	v_fmac_f32_e32 v66, v29, v94
	v_fma_f32 v29, v12, v96, -v91
	v_mov_b32_e32 v12, v39
	v_fmac_f32_e32 v14, 0x3dbcf732, v9
	v_add_f32_e32 v10, v8, v10
	v_mul_f32_e32 v62, 0xbf4c4adb, v13
	v_fma_f32 v23, v16, v88, -v83
	v_fmac_f32_e32 v12, 0x3ee437d1, v7
	v_add_f32_e32 v14, v14, v10
	v_mov_b32_e32 v10, v62
	v_sub_f32_e32 v16, v44, v67
	v_fmac_f32_e32 v58, v35, v80
	v_add_f32_e32 v12, v8, v12
	v_fmac_f32_e32 v10, 0xbf1a4643, v9
	v_mul_f32_e32 v35, 0xbf4c4adb, v16
	v_fmac_f32_e32 v65, v28, v92
	v_fma_f32 v28, v15, v94, -v89
	v_add_f32_e32 v12, v10, v12
	v_add_f32_e32 v10, v69, v29
	v_mov_b32_e32 v15, v35
	v_fmac_f32_e32 v15, 0xbf1a4643, v10
	v_mul_f32_e32 v75, 0x3e3c28d5, v16
	v_add_f32_e32 v14, v15, v14
	v_mov_b32_e32 v15, v75
	v_sub_f32_e32 v27, v46, v66
	v_fma_f32 v41, v22, v76, -v54
	v_fmac_f32_e32 v15, 0xbf7ba420, v10
	v_mul_f32_e32 v50, 0xbe3c28d5, v27
	v_fma_f32 v22, v21, v82, -v77
	v_fma_f32 v21, v19, v86, -v81
	v_add_f32_e32 v15, v15, v12
	v_add_f32_e32 v12, v41, v28
	v_mov_b32_e32 v19, v50
	v_fmac_f32_e32 v19, 0xbf7ba420, v12
	v_mul_f32_e32 v77, 0x3f763a35, v27
	v_fmac_f32_e32 v61, v33, v86
	v_add_f32_e32 v19, v19, v14
	v_mov_b32_e32 v14, v77
	v_sub_f32_e32 v33, v56, v65
	v_fmac_f32_e32 v14, 0xbe8c1d8e, v12
	v_mul_f32_e32 v74, 0x3f06c442, v33
	v_fmac_f32_e32 v60, v32, v84
	v_add_f32_e32 v15, v14, v15
	v_add_f32_e32 v14, v40, v31
	v_mov_b32_e32 v32, v74
	v_fmac_f32_e32 v32, 0xbf59a7d5, v14
	v_mul_f32_e32 v79, 0x3f2c7751, v33
	v_fmac_f32_e32 v59, v36, v82
	v_add_f32_e32 v19, v32, v19
	v_mov_b32_e32 v32, v79
	v_sub_f32_e32 v36, v58, v64
	v_fmac_f32_e32 v32, 0x3f3d2fb0, v14
	v_mul_f32_e32 v76, 0x3f763a35, v36
	v_add_f32_e32 v32, v32, v15
	v_add_f32_e32 v15, v38, v30
	v_mov_b32_e32 v34, v76
	v_fmac_f32_e32 v34, 0xbe8c1d8e, v15
	v_mul_f32_e32 v81, 0xbeb8f4ab, v36
	v_add_f32_e32 v19, v34, v19
	v_mov_b32_e32 v34, v81
	v_sub_f32_e32 v48, v59, v63
	v_fmac_f32_e32 v34, 0x3f6eb680, v15
	v_mul_f32_e32 v78, 0x3f65296c, v48
	v_add_f32_e32 v34, v34, v32
	v_add_f32_e32 v32, v22, v23
	v_mov_b32_e32 v52, v78
	v_fmac_f32_e32 v52, 0x3ee437d1, v32
	v_mul_f32_e32 v82, 0xbf7ee86f, v48
	;; [unrolled: 10-line block ×3, first 2 shown]
	v_add_f32_e32 v52, v52, v19
	v_mov_b32_e32 v19, v83
	v_fmac_f32_e32 v19, 0xbf59a7d5, v34
	v_add_f32_e32 v54, v19, v54
	v_lshrrev_b32_e32 v19, 1, v57
	s_and_saveexec_b64 s[6:7], s[2:3]
	s_cbranch_execz .LBB0_24
; %bb.23:
	v_mul_f32_e32 v100, 0xbe3c28d5, v11
	v_mov_b32_e32 v101, v100
	v_mul_f32_e32 v102, 0x3eb8f4ab, v13
	v_fmac_f32_e32 v101, 0xbf7ba420, v7
	v_mov_b32_e32 v103, v102
	v_add_f32_e32 v101, v8, v101
	v_fmac_f32_e32 v103, 0x3f6eb680, v9
	v_add_f32_e32 v101, v103, v101
	v_mul_f32_e32 v103, 0xbf06c442, v16
	v_mov_b32_e32 v104, v103
	v_fmac_f32_e32 v104, 0xbf59a7d5, v10
	v_add_f32_e32 v101, v104, v101
	v_mul_f32_e32 v104, 0x3f2c7751, v27
	v_mov_b32_e32 v105, v104
	;; [unrolled: 4-line block ×3, first 2 shown]
	v_fmac_f32_e32 v106, 0xbf1a4643, v14
	v_add_f32_e32 v101, v106, v101
	v_mul_f32_e32 v106, 0x3f65296c, v36
	v_fma_f32 v100, v7, s8, -v100
	v_mov_b32_e32 v107, v106
	v_add_f32_e32 v100, v8, v100
	v_fma_f32 v102, v9, s19, -v102
	v_fmac_f32_e32 v107, 0x3ee437d1, v15
	v_add_f32_e32 v100, v102, v100
	v_fma_f32 v102, v10, s14, -v103
	v_add_f32_e32 v101, v107, v101
	v_mul_f32_e32 v107, 0xbf763a35, v48
	v_add_f32_e32 v100, v102, v100
	v_fma_f32 v102, v12, s18, -v104
	v_mov_b32_e32 v108, v107
	v_add_f32_e32 v100, v102, v100
	v_fma_f32 v102, v14, s9, -v105
	v_fmac_f32_e32 v108, 0xbe8c1d8e, v32
	v_add_f32_e32 v100, v102, v100
	v_fma_f32 v102, v15, s16, -v106
	v_add_f32_e32 v101, v108, v101
	v_mul_f32_e32 v108, 0x3f7ee86f, v72
	v_add_f32_e32 v100, v102, v100
	v_fma_f32 v102, v32, s17, -v107
	v_add_f32_e32 v100, v102, v100
	v_fma_f32 v102, v34, s15, -v108
	v_add_f32_e32 v100, v102, v100
	v_mul_f32_e32 v102, 0xbf06c442, v11
	v_mov_b32_e32 v103, v102
	v_mul_f32_e32 v104, 0x3f65296c, v13
	v_fmac_f32_e32 v103, 0xbf59a7d5, v7
	v_mov_b32_e32 v105, v104
	v_add_f32_e32 v103, v8, v103
	v_fmac_f32_e32 v105, 0x3ee437d1, v9
	v_add_f32_e32 v103, v105, v103
	v_mul_f32_e32 v105, 0xbf7ee86f, v16
	v_mov_b32_e32 v106, v105
	v_fmac_f32_e32 v106, 0x3dbcf732, v10
	v_add_f32_e32 v103, v106, v103
	v_mul_f32_e32 v106, 0x3f4c4adb, v27
	v_mov_b32_e32 v107, v106
	v_fmac_f32_e32 v107, 0xbf1a4643, v12
	v_add_f32_e32 v103, v107, v103
	v_mul_f32_e32 v107, 0xbeb8f4ab, v33
	v_mov_b32_e32 v109, v108
	v_mov_b32_e32 v108, v107
	v_fmac_f32_e32 v108, 0x3f6eb680, v14
	v_fmac_f32_e32 v109, 0x3dbcf732, v34
	v_add_f32_e32 v103, v108, v103
	v_mul_f32_e32 v108, 0xbe3c28d5, v36
	v_fma_f32 v102, v7, s14, -v102
	v_add_f32_e32 v101, v109, v101
	v_mov_b32_e32 v109, v108
	v_add_f32_e32 v102, v8, v102
	v_fma_f32 v104, v9, s16, -v104
	v_fmac_f32_e32 v109, 0xbf7ba420, v15
	v_add_f32_e32 v102, v104, v102
	v_fma_f32 v104, v10, s15, -v105
	v_add_f32_e32 v103, v109, v103
	v_mul_f32_e32 v109, 0x3f2c7751, v48
	v_add_f32_e32 v102, v104, v102
	v_fma_f32 v104, v12, s9, -v106
	v_mov_b32_e32 v110, v109
	v_add_f32_e32 v102, v104, v102
	v_fma_f32 v104, v14, s19, -v107
	v_fmac_f32_e32 v110, 0x3f3d2fb0, v32
	v_add_f32_e32 v102, v104, v102
	v_fma_f32 v104, v15, s8, -v108
	v_add_f32_e32 v103, v110, v103
	v_mul_f32_e32 v110, 0xbf763a35, v72
	v_add_f32_e32 v102, v104, v102
	v_fma_f32 v104, v32, s18, -v109
	v_add_f32_e32 v102, v104, v102
	v_fma_f32 v104, v34, s17, -v110
	v_add_f32_e32 v102, v104, v102
	v_mul_f32_e32 v104, 0xbf4c4adb, v11
	v_mov_b32_e32 v105, v104
	v_mul_f32_e32 v106, 0x3f763a35, v13
	v_fmac_f32_e32 v105, 0xbf1a4643, v7
	v_mov_b32_e32 v107, v106
	v_add_f32_e32 v105, v8, v105
	v_fmac_f32_e32 v107, 0xbe8c1d8e, v9
	v_add_f32_e32 v105, v107, v105
	v_mul_f32_e32 v107, 0xbeb8f4ab, v16
	v_mov_b32_e32 v108, v107
	v_fmac_f32_e32 v108, 0x3f6eb680, v10
	v_add_f32_e32 v105, v108, v105
	v_mul_f32_e32 v108, 0xbf06c442, v27
	v_mov_b32_e32 v109, v108
	v_fmac_f32_e32 v109, 0xbf59a7d5, v12
	v_add_f32_e32 v105, v109, v105
	v_mul_f32_e32 v109, 0x3f7ee86f, v33
	v_mov_b32_e32 v111, v110
	v_mov_b32_e32 v110, v109
	v_fmac_f32_e32 v110, 0x3dbcf732, v14
	v_fmac_f32_e32 v111, 0xbe8c1d8e, v34
	v_add_f32_e32 v105, v110, v105
	v_mul_f32_e32 v110, 0xbf2c7751, v36
	v_fma_f32 v104, v7, s9, -v104
	v_add_f32_e32 v103, v111, v103
	;; [unrolled: 48-line block ×3, first 2 shown]
	v_mov_b32_e32 v113, v112
	v_add_f32_e32 v106, v8, v106
	v_fma_f32 v108, v9, s14, -v108
	v_fmac_f32_e32 v113, 0x3dbcf732, v15
	v_add_f32_e32 v106, v108, v106
	v_fma_f32 v108, v10, s18, -v109
	v_mul_f32_e32 v84, 0x3f3d2fb0, v7
	v_add_f32_e32 v107, v113, v107
	v_mul_f32_e32 v113, 0xbeb8f4ab, v48
	v_add_f32_e32 v106, v108, v106
	v_fma_f32 v108, v12, s16, -v110
	v_mul_f32_e32 v86, 0x3dbcf732, v9
	v_mov_b32_e32 v114, v113
	v_add_f32_e32 v106, v108, v106
	v_fma_f32 v108, v14, s8, -v111
	v_sub_f32_e32 v17, v84, v17
	v_mul_f32_e32 v88, 0xbf1a4643, v10
	v_fmac_f32_e32 v114, 0x3f6eb680, v32
	v_add_f32_e32 v106, v108, v106
	v_fma_f32 v108, v15, s15, -v112
	v_add_f32_e32 v17, v8, v17
	v_sub_f32_e32 v18, v86, v18
	v_mul_f32_e32 v90, 0xbf7ba420, v12
	v_add_f32_e32 v107, v114, v107
	v_mul_f32_e32 v114, 0xbf4c4adb, v72
	v_add_f32_e32 v106, v108, v106
	v_fma_f32 v108, v32, s19, -v113
	v_add_f32_e32 v17, v18, v17
	v_sub_f32_e32 v18, v88, v35
	v_mul_f32_e32 v92, 0xbf59a7d5, v14
	v_add_f32_e32 v106, v108, v106
	v_fma_f32 v108, v34, s9, -v114
	v_add_f32_e32 v17, v18, v17
	v_sub_f32_e32 v18, v90, v50
	v_mul_f32_e32 v94, 0xbe8c1d8e, v15
	v_add_f32_e32 v106, v108, v106
	v_mul_f32_e32 v108, 0xbf7ee86f, v11
	v_add_f32_e32 v17, v18, v17
	v_sub_f32_e32 v18, v92, v74
	v_mul_f32_e32 v96, 0x3ee437d1, v32
	v_mov_b32_e32 v109, v108
	v_mul_f32_e32 v110, 0xbe3c28d5, v13
	v_add_f32_e32 v17, v18, v17
	v_sub_f32_e32 v18, v94, v76
	v_mul_f32_e32 v98, 0x3f6eb680, v34
	v_fmac_f32_e32 v109, 0x3dbcf732, v7
	v_mov_b32_e32 v111, v110
	v_add_f32_e32 v17, v18, v17
	v_sub_f32_e32 v18, v96, v78
	v_add_f32_e32 v109, v8, v109
	v_fmac_f32_e32 v111, 0xbf7ba420, v9
	v_add_f32_e32 v17, v18, v17
	v_sub_f32_e32 v18, v98, v80
	v_mul_f32_e32 v11, 0xbeb8f4ab, v11
	v_add_f32_e32 v109, v111, v109
	v_mul_f32_e32 v111, 0x3f763a35, v16
	v_add_f32_e32 v17, v18, v17
	v_mov_b32_e32 v18, v11
	v_mul_f32_e32 v13, 0xbf2c7751, v13
	v_mov_b32_e32 v112, v111
	v_fmac_f32_e32 v18, 0x3f6eb680, v7
	v_mov_b32_e32 v35, v13
	v_fmac_f32_e32 v112, 0xbe8c1d8e, v10
	v_add_f32_e32 v18, v8, v18
	v_fmac_f32_e32 v35, 0x3f3d2fb0, v9
	v_mul_f32_e32 v16, 0xbf65296c, v16
	v_mul_f32_e32 v85, 0x3ee437d1, v7
	v_add_f32_e32 v109, v112, v109
	v_mul_f32_e32 v112, 0x3eb8f4ab, v27
	v_add_f32_e32 v18, v35, v18
	v_mov_b32_e32 v35, v16
	v_mov_b32_e32 v113, v112
	v_fma_f32 v108, v7, s15, -v108
	v_sub_f32_e32 v39, v85, v39
	v_fmac_f32_e32 v35, 0x3ee437d1, v10
	v_mul_f32_e32 v27, 0xbf7ee86f, v27
	v_fma_f32 v7, v7, s19, -v11
	v_fmac_f32_e32 v113, 0x3f6eb680, v12
	v_add_f32_e32 v108, v8, v108
	v_add_f32_e32 v39, v8, v39
	;; [unrolled: 1-line block ×3, first 2 shown]
	v_mov_b32_e32 v35, v27
	v_add_f32_e32 v7, v8, v7
	v_add_f32_e32 v8, v8, v73
	;; [unrolled: 1-line block ×3, first 2 shown]
	v_mul_f32_e32 v113, 0xbf65296c, v33
	v_fmac_f32_e32 v35, 0x3dbcf732, v12
	v_mul_f32_e32 v33, 0xbf763a35, v33
	v_add_f32_e32 v8, v8, v70
	v_add_f32_e32 v18, v35, v18
	v_mov_b32_e32 v35, v33
	v_add_f32_e32 v8, v8, v69
	v_mov_b32_e32 v115, v114
	v_mov_b32_e32 v114, v113
	v_fmac_f32_e32 v35, 0xbe8c1d8e, v14
	v_add_f32_e32 v8, v8, v41
	v_fmac_f32_e32 v114, 0x3ee437d1, v14
	v_add_f32_e32 v18, v35, v18
	v_mul_f32_e32 v35, 0xbf4c4adb, v36
	v_add_f32_e32 v8, v8, v40
	v_mul_f32_e32 v87, 0xbf1a4643, v9
	v_fmac_f32_e32 v115, 0xbf1a4643, v34
	v_add_f32_e32 v109, v114, v109
	v_mul_f32_e32 v114, 0xbf06c442, v36
	v_fma_f32 v110, v9, s8, -v110
	v_mov_b32_e32 v36, v35
	v_fma_f32 v9, v9, s18, -v13
	v_add_f32_e32 v8, v8, v38
	v_add_f32_e32 v107, v115, v107
	v_mov_b32_e32 v115, v114
	v_fmac_f32_e32 v36, 0xbf1a4643, v15
	v_add_f32_e32 v7, v9, v7
	v_fma_f32 v9, v10, s16, -v16
	v_add_f32_e32 v8, v8, v22
	v_fmac_f32_e32 v115, 0xbf59a7d5, v15
	v_add_f32_e32 v18, v36, v18
	v_mul_f32_e32 v36, 0xbf06c442, v48
	v_add_f32_e32 v7, v9, v7
	v_fma_f32 v9, v12, s15, -v27
	v_add_f32_e32 v8, v8, v20
	v_add_f32_e32 v109, v115, v109
	v_mul_f32_e32 v115, 0x3f4c4adb, v48
	v_mov_b32_e32 v48, v36
	v_add_f32_e32 v7, v9, v7
	v_fma_f32 v9, v14, s17, -v33
	v_add_f32_e32 v8, v8, v21
	v_mul_f32_e32 v89, 0xbf7ba420, v10
	v_sub_f32_e32 v62, v87, v62
	v_fmac_f32_e32 v48, 0xbf59a7d5, v32
	v_add_f32_e32 v7, v9, v7
	v_fma_f32 v9, v15, s9, -v35
	v_add_f32_e32 v8, v8, v23
	v_mul_f32_e32 v91, 0xbe8c1d8e, v12
	v_add_f32_e32 v108, v110, v108
	v_fma_f32 v110, v10, s17, -v111
	v_add_f32_e32 v39, v62, v39
	v_sub_f32_e32 v62, v89, v75
	v_add_f32_e32 v18, v48, v18
	v_mul_f32_e32 v48, 0xbe3c28d5, v72
	v_add_f32_e32 v7, v9, v7
	v_fma_f32 v9, v32, s14, -v36
	v_add_f32_e32 v8, v8, v30
	v_mul_f32_e32 v93, 0x3f3d2fb0, v14
	v_mov_b32_e32 v116, v115
	v_add_f32_e32 v108, v110, v108
	v_fma_f32 v110, v12, s19, -v112
	v_add_f32_e32 v39, v62, v39
	v_sub_f32_e32 v62, v91, v77
	v_add_f32_e32 v7, v9, v7
	v_fma_f32 v9, v34, s8, -v48
	v_add_f32_e32 v8, v8, v31
	v_mul_f32_e32 v95, 0x3f6eb680, v15
	v_fmac_f32_e32 v116, 0xbf1a4643, v32
	v_add_f32_e32 v108, v110, v108
	v_fma_f32 v110, v14, s16, -v113
	v_add_f32_e32 v39, v62, v39
	v_sub_f32_e32 v62, v93, v79
	v_add_f32_e32 v7, v9, v7
	v_add_f32_e32 v8, v8, v28
	v_mul_u32_u24_e32 v9, 34, v19
	v_mul_f32_e32 v97, 0x3dbcf732, v32
	v_add_f32_e32 v109, v116, v109
	v_mul_f32_e32 v116, 0x3f2c7751, v72
	v_add_f32_e32 v108, v110, v108
	v_fma_f32 v110, v15, s14, -v114
	v_add_f32_e32 v39, v62, v39
	v_sub_f32_e32 v62, v95, v81
	v_add_f32_e32 v8, v8, v29
	v_or_b32_e32 v9, v9, v24
	v_mul_f32_e32 v99, 0xbf59a7d5, v34
	v_mov_b32_e32 v117, v116
	v_add_f32_e32 v108, v110, v108
	v_fma_f32 v110, v32, s9, -v115
	v_add_f32_e32 v39, v62, v39
	v_sub_f32_e32 v62, v97, v82
	v_mov_b32_e32 v50, v48
	v_add_f32_e32 v8, v8, v26
	v_lshlrev_b32_e32 v9, 2, v9
	v_fmac_f32_e32 v117, 0x3f3d2fb0, v34
	v_add_f32_e32 v108, v110, v108
	v_fma_f32 v110, v34, s18, -v116
	v_add_f32_e32 v39, v62, v39
	v_sub_f32_e32 v62, v99, v83
	v_fmac_f32_e32 v50, 0xbf7ba420, v34
	v_add_f32_e32 v8, v8, v25
	v_add3_u32 v9, 0, v9, v49
	v_add_f32_e32 v109, v117, v109
	v_add_f32_e32 v108, v110, v108
	;; [unrolled: 1-line block ×4, first 2 shown]
	ds_write2_b32 v9, v8, v7 offset1:2
	ds_write2_b32 v9, v17, v39 offset0:4 offset1:6
	ds_write2_b32 v9, v108, v106 offset0:8 offset1:10
	;; [unrolled: 1-line block ×7, first 2 shown]
	ds_write_b32 v9, v18 offset:128
.LBB0_24:
	s_or_b64 exec, exec, s[6:7]
	v_add3_u32 v50, 0, v5, v49
	v_add_u32_e32 v7, 0x600, v50
	s_waitcnt lgkmcnt(0)
	s_barrier
	ds_read2_b32 v[11:12], v7 offset0:126 offset1:194
	ds_read2_b32 v[13:14], v50 offset0:68 offset1:136
	v_add_u32_e32 v7, 0x800, v50
	ds_read2_b32 v[9:10], v7 offset0:134 offset1:202
	v_add_u32_e32 v7, 0x200, v50
	;; [unrolled: 2-line block ×3, first 2 shown]
	v_add_u32_e32 v17, 0x400, v50
	v_add3_u32 v48, 0, v49, v5
	ds_read2_b32 v[7:8], v7 offset0:14 offset1:82
	ds_read2_b32 v[17:18], v17 offset0:84 offset1:152
	ds_read_b32 v72, v48
	ds_read_b32 v62, v50 offset:3672
	s_and_saveexec_b64 s[6:7], vcc
	s_cbranch_execz .LBB0_26
; %bb.25:
	ds_read_b32 v54, v50 offset:1904
	ds_read_b32 v52, v50 offset:3944
.LBB0_26:
	s_or_b64 exec, exec, s[6:7]
	v_sub_f32_e32 v81, v73, v25
	v_add_f32_e32 v80, v37, v71
	s_mov_b32 s14, 0x3f3d2fb0
	v_mul_f32_e32 v84, 0xbf2c7751, v81
	v_sub_f32_e32 v78, v70, v26
	v_fma_f32 v25, v80, s14, -v84
	s_mov_b32 s9, 0x3ee437d1
	v_mul_f32_e32 v85, 0xbf65296c, v81
	v_add_f32_e32 v76, v42, v68
	s_mov_b32 s8, 0x3dbcf732
	v_mul_f32_e32 v82, 0xbf7ee86f, v78
	v_add_f32_e32 v25, v6, v25
	v_fma_f32 v27, v80, s9, -v85
	v_fma_f32 v26, v76, s8, -v82
	s_mov_b32 s15, 0xbf1a4643
	v_mul_f32_e32 v83, 0xbf4c4adb, v78
	v_sub_f32_e32 v74, v69, v29
	v_add_f32_e32 v27, v6, v27
	v_add_f32_e32 v25, v26, v25
	v_fma_f32 v26, v76, s15, -v83
	v_add_f32_e32 v73, v44, v67
	v_mul_f32_e32 v77, 0xbf4c4adb, v74
	v_add_f32_e32 v26, v26, v27
	v_fma_f32 v27, v73, s15, -v77
	s_mov_b32 s17, 0xbf7ba420
	v_mul_f32_e32 v79, 0x3e3c28d5, v74
	v_sub_f32_e32 v39, v41, v28
	v_add_f32_e32 v25, v27, v25
	v_fma_f32 v27, v73, s17, -v79
	v_add_f32_e32 v35, v46, v66
	v_mul_f32_e32 v41, 0xbe3c28d5, v39
	v_add_f32_e32 v26, v27, v26
	v_fma_f32 v27, v35, s17, -v41
	s_mov_b32 s16, 0xbe8c1d8e
	v_mul_f32_e32 v75, 0x3f763a35, v39
	v_sub_f32_e32 v33, v40, v31
	v_add_f32_e32 v25, v27, v25
	v_fma_f32 v27, v35, s16, -v75
	v_add_f32_e32 v32, v56, v65
	s_mov_b32 s19, 0xbf59a7d5
	v_mul_f32_e32 v36, 0x3f06c442, v33
	v_add_f32_e32 v26, v27, v26
	v_fma_f32 v27, v32, s19, -v36
	v_mul_f32_e32 v40, 0x3f2c7751, v33
	v_add_f32_e32 v25, v27, v25
	v_fma_f32 v27, v32, s14, -v40
	v_sub_f32_e32 v30, v38, v30
	v_add_f32_e32 v26, v27, v26
	v_add_f32_e32 v27, v58, v64
	v_mul_f32_e32 v31, 0x3f763a35, v30
	v_fma_f32 v28, v27, s16, -v31
	s_mov_b32 s18, 0x3f6eb680
	v_mul_f32_e32 v34, 0xbeb8f4ab, v30
	v_add_f32_e32 v29, v28, v25
	v_fma_f32 v25, v27, s18, -v34
	v_add_f32_e32 v38, v25, v26
	v_sub_f32_e32 v26, v22, v23
	v_add_f32_e32 v25, v59, v63
	v_mul_f32_e32 v28, 0x3f65296c, v26
	v_fma_f32 v22, v25, s9, -v28
	v_add_f32_e32 v23, v22, v29
	v_mul_f32_e32 v29, 0xbf7ee86f, v26
	v_fma_f32 v22, v25, s8, -v29
	v_sub_f32_e32 v20, v20, v21
	v_add_f32_e32 v38, v22, v38
	v_add_f32_e32 v22, v60, v61
	v_mul_f32_e32 v21, 0x3eb8f4ab, v20
	v_fma_f32 v69, v22, s18, -v21
	v_add_f32_e32 v70, v69, v23
	v_mul_f32_e32 v23, 0xbf06c442, v20
	v_fma_f32 v69, v22, s19, -v23
	v_add_f32_e32 v69, v69, v38
	s_waitcnt lgkmcnt(0)
	s_barrier
	s_and_saveexec_b64 s[6:7], s[2:3]
	s_cbranch_execz .LBB0_28
; %bb.27:
	v_add_f32_e32 v37, v6, v37
	v_add_f32_e32 v37, v37, v42
	;; [unrolled: 1-line block ×13, first 2 shown]
	v_mul_f32_e32 v66, 0xbe3c28d5, v81
	v_mul_f32_e32 v38, 0x3f3d2fb0, v80
	;; [unrolled: 1-line block ×3, first 2 shown]
	v_add_f32_e32 v37, v37, v67
	v_mul_f32_e32 v42, 0xbeb8f4ab, v81
	v_mul_f32_e32 v56, 0xbf7ee86f, v81
	;; [unrolled: 1-line block ×5, first 2 shown]
	v_mov_b32_e32 v67, v66
	v_fma_f32 v44, v80, s18, -v42
	v_fmac_f32_e32 v42, 0x3f6eb680, v80
	v_add_f32_e32 v38, v84, v38
	v_add_f32_e32 v46, v85, v86
	v_fma_f32 v58, v80, s8, -v56
	v_fmac_f32_e32 v56, 0x3dbcf732, v80
	v_fma_f32 v60, v80, s16, -v59
	v_fmac_f32_e32 v59, 0xbe8c1d8e, v80
	;; [unrolled: 2-line block ×4, first 2 shown]
	v_fmac_f32_e32 v67, 0xbf7ba420, v80
	v_fma_f32 v66, v80, s17, -v66
	v_add_f32_e32 v42, v6, v42
	v_add_f32_e32 v44, v6, v44
	;; [unrolled: 1-line block ×14, first 2 shown]
	v_mul_f32_e32 v66, 0xbf2c7751, v78
	v_mul_f32_e32 v87, 0x3dbcf732, v76
	v_add_f32_e32 v37, v37, v68
	v_fma_f32 v68, v76, s14, -v66
	v_fmac_f32_e32 v66, 0x3f3d2fb0, v76
	v_mul_f32_e32 v88, 0xbf1a4643, v76
	v_add_f32_e32 v42, v66, v42
	v_add_f32_e32 v66, v82, v87
	;; [unrolled: 1-line block ×5, first 2 shown]
	v_mul_f32_e32 v66, 0xbe3c28d5, v78
	v_add_f32_e32 v44, v68, v44
	v_fma_f32 v68, v76, s17, -v66
	v_fmac_f32_e32 v66, 0xbf7ba420, v76
	v_add_f32_e32 v56, v66, v56
	v_mul_f32_e32 v66, 0x3f06c442, v78
	v_add_f32_e32 v58, v68, v58
	v_fma_f32 v68, v76, s19, -v66
	v_fmac_f32_e32 v66, 0xbf59a7d5, v76
	v_add_f32_e32 v59, v66, v59
	;; [unrolled: 5-line block ×4, first 2 shown]
	v_mul_f32_e32 v66, 0x3eb8f4ab, v78
	v_add_f32_e32 v65, v68, v65
	v_mov_b32_e32 v68, v66
	v_fma_f32 v66, v76, s18, -v66
	v_fmac_f32_e32 v68, 0x3f6eb680, v76
	v_add_f32_e32 v6, v66, v6
	v_mul_f32_e32 v66, 0xbf65296c, v74
	v_mul_f32_e32 v89, 0xbf1a4643, v73
	v_add_f32_e32 v67, v68, v67
	v_fma_f32 v68, v73, s9, -v66
	v_fmac_f32_e32 v66, 0x3ee437d1, v73
	v_mul_f32_e32 v90, 0xbf7ba420, v73
	v_add_f32_e32 v42, v66, v42
	v_add_f32_e32 v66, v77, v89
	;; [unrolled: 1-line block ×5, first 2 shown]
	v_mul_f32_e32 v66, 0x3f763a35, v74
	v_add_f32_e32 v44, v68, v44
	v_fma_f32 v68, v73, s16, -v66
	v_fmac_f32_e32 v66, 0xbe8c1d8e, v73
	v_add_f32_e32 v56, v66, v56
	v_mul_f32_e32 v66, 0x3f2c7751, v74
	v_add_f32_e32 v58, v68, v58
	v_fma_f32 v68, v73, s14, -v66
	v_fmac_f32_e32 v66, 0x3f3d2fb0, v73
	v_add_f32_e32 v59, v66, v59
	;; [unrolled: 5-line block ×3, first 2 shown]
	v_mul_f32_e32 v66, 0xbf7ee86f, v74
	v_add_f32_e32 v63, v68, v63
	v_fma_f32 v68, v73, s8, -v66
	v_fmac_f32_e32 v66, 0x3dbcf732, v73
	v_mul_f32_e32 v91, 0xbf7ba420, v35
	v_add_f32_e32 v64, v66, v64
	v_mul_f32_e32 v66, 0xbf06c442, v74
	v_mul_f32_e32 v92, 0xbe8c1d8e, v35
	v_add_f32_e32 v65, v68, v65
	v_mov_b32_e32 v68, v66
	v_fma_f32 v66, v73, s19, -v66
	v_add_f32_e32 v41, v41, v91
	v_fmac_f32_e32 v68, 0xbf59a7d5, v73
	v_add_f32_e32 v6, v66, v6
	v_mul_f32_e32 v66, 0xbf7ee86f, v39
	v_add_f32_e32 v38, v41, v38
	v_add_f32_e32 v41, v75, v92
	;; [unrolled: 1-line block ×3, first 2 shown]
	v_fma_f32 v68, v35, s8, -v66
	v_fmac_f32_e32 v66, 0x3dbcf732, v35
	v_add_f32_e32 v41, v41, v46
	v_mul_f32_e32 v46, 0x3eb8f4ab, v39
	v_add_f32_e32 v42, v66, v42
	v_fma_f32 v66, v35, s18, -v46
	v_fmac_f32_e32 v46, 0x3f6eb680, v35
	v_add_f32_e32 v46, v46, v56
	v_add_f32_e32 v56, v66, v58
	v_mul_f32_e32 v58, 0xbf65296c, v39
	v_fma_f32 v66, v35, s9, -v58
	v_fmac_f32_e32 v58, 0x3ee437d1, v35
	v_add_f32_e32 v58, v58, v59
	v_add_f32_e32 v59, v66, v60
	v_mul_f32_e32 v60, 0xbf06c442, v39
	;; [unrolled: 5-line block ×3, first 2 shown]
	v_fma_f32 v66, v35, s15, -v63
	v_fmac_f32_e32 v63, 0xbf1a4643, v35
	v_mul_f32_e32 v39, 0x3f2c7751, v39
	v_add_f32_e32 v63, v63, v64
	v_add_f32_e32 v64, v66, v65
	v_mov_b32_e32 v65, v39
	v_mul_f32_e32 v93, 0xbf59a7d5, v32
	v_fmac_f32_e32 v65, 0x3f3d2fb0, v35
	v_fma_f32 v35, v35, s14, -v39
	v_mul_f32_e32 v94, 0x3f3d2fb0, v32
	v_add_f32_e32 v6, v35, v6
	v_mul_f32_e32 v35, 0xbf763a35, v33
	v_add_f32_e32 v36, v36, v93
	v_fma_f32 v39, v32, s16, -v35
	v_fmac_f32_e32 v35, 0xbe8c1d8e, v32
	v_add_f32_e32 v36, v36, v38
	v_add_f32_e32 v38, v40, v94
	v_mul_f32_e32 v40, 0xbf65296c, v33
	v_add_f32_e32 v44, v68, v44
	v_add_f32_e32 v35, v35, v42
	;; [unrolled: 1-line block ×3, first 2 shown]
	v_fma_f32 v41, v32, s9, -v40
	v_fmac_f32_e32 v40, 0x3ee437d1, v32
	v_mul_f32_e32 v42, 0xbe3c28d5, v33
	v_add_f32_e32 v39, v39, v44
	v_add_f32_e32 v40, v40, v46
	v_fma_f32 v44, v32, s17, -v42
	v_fmac_f32_e32 v42, 0xbf7ba420, v32
	v_mul_f32_e32 v46, 0x3f7ee86f, v33
	v_add_f32_e32 v41, v41, v56
	v_add_f32_e32 v42, v42, v58
	v_fma_f32 v56, v32, s8, -v46
	v_fmac_f32_e32 v46, 0x3dbcf732, v32
	v_mul_f32_e32 v58, 0xbeb8f4ab, v33
	v_mul_f32_e32 v33, 0xbf4c4adb, v33
	v_add_f32_e32 v46, v46, v60
	v_mov_b32_e32 v60, v33
	v_add_f32_e32 v44, v44, v59
	v_fma_f32 v59, v32, s18, -v58
	v_fmac_f32_e32 v58, 0x3f6eb680, v32
	v_fmac_f32_e32 v60, 0xbf1a4643, v32
	v_fma_f32 v32, v32, s15, -v33
	v_add_f32_e32 v6, v32, v6
	v_mul_f32_e32 v32, 0xbf4c4adb, v30
	v_mul_f32_e32 v95, 0xbe8c1d8e, v27
	;; [unrolled: 1-line block ×3, first 2 shown]
	v_fma_f32 v33, v27, s15, -v32
	v_fmac_f32_e32 v32, 0xbf1a4643, v27
	v_add_f32_e32 v32, v32, v35
	v_add_f32_e32 v31, v31, v95
	;; [unrolled: 1-line block ×3, first 2 shown]
	v_mul_f32_e32 v35, 0xbf06c442, v30
	v_add_f32_e32 v31, v31, v36
	v_add_f32_e32 v34, v34, v38
	v_fma_f32 v36, v27, s19, -v35
	v_fmac_f32_e32 v35, 0xbf59a7d5, v27
	v_mul_f32_e32 v38, 0x3f7ee86f, v30
	v_add_f32_e32 v33, v33, v39
	v_add_f32_e32 v35, v35, v40
	v_fma_f32 v39, v27, s8, -v38
	v_fmac_f32_e32 v38, 0x3dbcf732, v27
	;; [unrolled: 5-line block ×3, first 2 shown]
	v_mul_f32_e32 v42, 0xbe3c28d5, v30
	v_mul_f32_e32 v30, 0x3f65296c, v30
	v_add_f32_e32 v40, v40, v46
	v_mov_b32_e32 v46, v30
	v_mul_f32_e32 v97, 0x3ee437d1, v25
	v_add_f32_e32 v39, v39, v44
	v_fma_f32 v44, v27, s17, -v42
	v_fmac_f32_e32 v42, 0xbf7ba420, v27
	v_fmac_f32_e32 v46, 0x3ee437d1, v27
	v_fma_f32 v27, v27, s9, -v30
	v_add_f32_e32 v6, v27, v6
	v_mul_f32_e32 v27, 0xbf06c442, v26
	v_add_f32_e32 v28, v28, v97
	v_mul_f32_e32 v98, 0x3dbcf732, v25
	v_fma_f32 v30, v25, s19, -v27
	v_fmac_f32_e32 v27, 0xbf59a7d5, v25
	v_add_f32_e32 v28, v28, v31
	v_mul_f32_e32 v31, 0x3f4c4adb, v26
	v_add_f32_e32 v27, v27, v32
	v_add_f32_e32 v30, v30, v33
	;; [unrolled: 1-line block ×3, first 2 shown]
	v_fma_f32 v32, v25, s15, -v31
	v_fmac_f32_e32 v31, 0xbf1a4643, v25
	v_mul_f32_e32 v33, 0xbeb8f4ab, v26
	v_add_f32_e32 v29, v29, v34
	v_add_f32_e32 v31, v31, v35
	v_fma_f32 v34, v25, s18, -v33
	v_fmac_f32_e32 v33, 0x3f6eb680, v25
	v_mul_f32_e32 v35, 0xbe3c28d5, v26
	v_add_f32_e32 v32, v32, v36
	v_add_f32_e32 v33, v33, v38
	v_fma_f32 v36, v25, s17, -v35
	v_fmac_f32_e32 v35, 0xbf7ba420, v25
	v_mul_f32_e32 v38, 0x3f2c7751, v26
	v_mul_f32_e32 v26, 0xbf763a35, v26
	v_add_f32_e32 v35, v35, v40
	v_mov_b32_e32 v40, v26
	v_add_f32_e32 v34, v34, v39
	v_fma_f32 v39, v25, s14, -v38
	v_fmac_f32_e32 v38, 0x3f3d2fb0, v25
	v_fmac_f32_e32 v40, 0xbe8c1d8e, v25
	v_fma_f32 v25, v25, s16, -v26
	v_add_f32_e32 v6, v25, v6
	v_mul_f32_e32 v25, 0xbe3c28d5, v20
	v_mul_f32_e32 v99, 0x3f6eb680, v22
	;; [unrolled: 1-line block ×3, first 2 shown]
	v_fma_f32 v26, v22, s17, -v25
	v_fmac_f32_e32 v25, 0xbf7ba420, v22
	v_add_f32_e32 v25, v25, v27
	v_add_f32_e32 v21, v21, v99
	v_add_f32_e32 v23, v23, v100
	v_mul_f32_e32 v27, 0x3f2c7751, v20
	v_add_f32_e32 v21, v21, v28
	v_add_f32_e32 v23, v23, v29
	v_fma_f32 v28, v22, s14, -v27
	v_fmac_f32_e32 v27, 0x3f3d2fb0, v22
	v_mul_f32_e32 v29, 0xbf4c4adb, v20
	v_add_f32_e32 v65, v65, v67
	v_add_f32_e32 v26, v26, v30
	;; [unrolled: 1-line block ×3, first 2 shown]
	v_fma_f32 v30, v22, s15, -v29
	v_fmac_f32_e32 v29, 0xbf1a4643, v22
	v_mul_f32_e32 v31, 0x3f65296c, v20
	v_mul_u32_u24_e32 v19, 34, v19
	v_add_f32_e32 v56, v56, v61
	v_add_f32_e32 v58, v58, v63
	;; [unrolled: 1-line block ×6, first 2 shown]
	v_fma_f32 v32, v22, s9, -v31
	v_fmac_f32_e32 v31, 0x3ee437d1, v22
	v_mul_f32_e32 v33, 0xbf763a35, v20
	v_mul_f32_e32 v20, 0x3f7ee86f, v20
	v_or_b32_e32 v19, v19, v24
	v_add_f32_e32 v41, v41, v56
	v_add_f32_e32 v42, v42, v58
	;; [unrolled: 1-line block ×5, first 2 shown]
	v_mov_b32_e32 v35, v20
	v_lshlrev_b32_e32 v19, 2, v19
	v_add_f32_e32 v37, v37, v71
	v_add_f32_e32 v36, v36, v41
	;; [unrolled: 1-line block ×6, first 2 shown]
	v_fma_f32 v34, v22, s16, -v33
	v_fmac_f32_e32 v33, 0xbe8c1d8e, v22
	v_fmac_f32_e32 v35, 0x3dbcf732, v22
	v_fma_f32 v20, v22, s8, -v20
	v_add3_u32 v19, 0, v19, v49
	v_add_f32_e32 v32, v32, v36
	v_add_f32_e32 v33, v33, v38
	;; [unrolled: 1-line block ×5, first 2 shown]
	ds_write2_b32 v19, v37, v25 offset1:2
	ds_write2_b32 v19, v21, v23 offset0:4 offset1:6
	ds_write2_b32 v19, v27, v29 offset0:8 offset1:10
	;; [unrolled: 1-line block ×7, first 2 shown]
	ds_write_b32 v19, v26 offset:128
.LBB0_28:
	s_or_b64 exec, exec, s[6:7]
	v_add_u32_e32 v6, 0x600, v50
	s_waitcnt lgkmcnt(0)
	s_barrier
	ds_read2_b32 v[29:30], v6 offset0:126 offset1:194
	ds_read2_b32 v[19:20], v50 offset0:68 offset1:136
	v_add_u32_e32 v6, 0x800, v50
	ds_read2_b32 v[27:28], v6 offset0:134 offset1:202
	v_add_u32_e32 v6, 0x200, v50
	;; [unrolled: 2-line block ×4, first 2 shown]
	ds_read2_b32 v[23:24], v6 offset0:84 offset1:152
	ds_read_b32 v56, v48
	ds_read_b32 v58, v50 offset:3672
	s_and_saveexec_b64 s[2:3], vcc
	s_cbranch_execz .LBB0_30
; %bb.29:
	ds_read_b32 v69, v50 offset:1904
	ds_read_b32 v70, v50 offset:3944
.LBB0_30:
	s_or_b64 exec, exec, s[2:3]
	v_subrev_u32_e32 v6, 34, v57
	v_cndmask_b32_e32 v59, v6, v57, vcc
	v_mov_b32_e32 v60, 0
	v_lshlrev_b64 v[31:32], 3, v[59:60]
	v_mov_b32_e32 v6, s13
	v_add_co_u32_e64 v31, s[2:3], s12, v31
	v_addc_co_u32_e64 v32, s[2:3], v6, v32, s[2:3]
	s_movk_i32 s2, 0xf1
	v_mul_lo_u16_sdwa v6, v0, s2 dst_sel:DWORD dst_unused:UNUSED_PAD src0_sel:BYTE_0 src1_sel:DWORD
	v_mul_lo_u16_sdwa v34, v47, s2 dst_sel:DWORD dst_unused:UNUSED_PAD src0_sel:BYTE_0 src1_sel:DWORD
	v_lshrrev_b16_e32 v6, 13, v6
	v_lshrrev_b16_e32 v61, 13, v34
	v_mul_lo_u16_e32 v33, 34, v6
	v_mul_lo_u16_e32 v34, 34, v61
	v_sub_u16_e32 v60, v0, v33
	v_mov_b32_e32 v33, 3
	v_sub_u16_e32 v63, v47, v34
	s_mov_b32 s2, 0xf0f1
	v_lshlrev_b32_sdwa v41, v33, v60 dst_sel:DWORD dst_unused:UNUSED_PAD src0_sel:DWORD src1_sel:BYTE_0
	v_lshlrev_b32_sdwa v42, v33, v63 dst_sel:DWORD dst_unused:UNUSED_PAD src0_sel:DWORD src1_sel:BYTE_0
	v_mul_u32_u24_sdwa v33, v53, s2 dst_sel:DWORD dst_unused:UNUSED_PAD src0_sel:WORD_0 src1_sel:DWORD
	v_lshrrev_b32_e32 v64, 21, v33
	v_mul_lo_u16_e32 v33, 34, v64
	v_sub_u16_e32 v65, v53, v33
	v_lshlrev_b32_e32 v44, 3, v65
	global_load_dwordx2 v[39:40], v[31:32], off offset:256
	global_load_dwordx2 v[37:38], v41, s[12:13] offset:256
	global_load_dwordx2 v[35:36], v42, s[12:13] offset:256
	;; [unrolled: 1-line block ×3, first 2 shown]
	v_mul_u32_u24_sdwa v31, v51, s2 dst_sel:DWORD dst_unused:UNUSED_PAD src0_sel:WORD_0 src1_sel:DWORD
	v_lshrrev_b32_e32 v66, 21, v31
	v_mul_u32_u24_sdwa v32, v45, s2 dst_sel:DWORD dst_unused:UNUSED_PAD src0_sel:WORD_0 src1_sel:DWORD
	v_mul_u32_u24_sdwa v41, v43, s2 dst_sel:DWORD dst_unused:UNUSED_PAD src0_sel:WORD_0 src1_sel:DWORD
	v_mul_lo_u16_e32 v31, 34, v66
	v_lshrrev_b32_e32 v68, 21, v32
	v_lshrrev_b32_e32 v73, 21, v41
	v_sub_u16_e32 v67, v51, v31
	v_mul_lo_u16_e32 v32, 34, v68
	v_mul_lo_u16_e32 v41, 34, v73
	v_lshlrev_b32_e32 v31, 3, v67
	v_sub_u16_e32 v71, v45, v32
	v_sub_u16_e32 v74, v43, v41
	v_lshlrev_b32_e32 v32, 3, v71
	v_lshlrev_b32_e32 v75, 3, v74
	global_load_dwordx2 v[45:46], v31, s[12:13] offset:256
	global_load_dwordx2 v[43:44], v32, s[12:13] offset:256
	;; [unrolled: 1-line block ×3, first 2 shown]
	v_mul_u32_u24_sdwa v31, v55, s2 dst_sel:DWORD dst_unused:UNUSED_PAD src0_sel:WORD_0 src1_sel:DWORD
	v_lshrrev_b32_e32 v31, 21, v31
	v_mul_lo_u16_e32 v31, 34, v31
	v_sub_u16_e32 v75, v55, v31
	v_lshlrev_b32_e32 v31, 3, v75
	global_load_dwordx2 v[31:32], v31, s[12:13] offset:256
	v_mov_b32_e32 v55, 0x110
	v_cmp_lt_u32_e64 s[2:3], 33, v57
	v_cndmask_b32_e64 v55, 0, v55, s[2:3]
	v_add_u32_e32 v55, 0, v55
	v_lshlrev_b32_e32 v59, 2, v59
	v_add3_u32 v55, v55, v59, v49
	s_movk_i32 s6, 0x110
	s_waitcnt vmcnt(0) lgkmcnt(0)
	s_barrier
	v_mad_u32_u24 v6, v6, s6, 0
	v_mul_f32_e32 v76, v29, v40
	v_fma_f32 v76, v11, v39, -v76
	v_sub_f32_e32 v76, v72, v76
	v_mul_f32_e32 v77, v30, v38
	v_fma_f32 v72, v72, 2.0, -v76
	v_fma_f32 v77, v12, v37, -v77
	ds_write2_b32 v55, v72, v76 offset1:34
	v_mov_b32_e32 v72, 2
	v_sub_f32_e32 v77, v13, v77
	v_lshlrev_b32_sdwa v59, v72, v60 dst_sel:DWORD dst_unused:UNUSED_PAD src0_sel:DWORD src1_sel:BYTE_0
	v_fma_f32 v13, v13, 2.0, -v77
	v_add3_u32 v59, v6, v59, v49
	ds_write2_b32 v59, v13, v77 offset1:34
	v_mad_u32_u24 v6, v61, s6, 0
	v_lshlrev_b32_sdwa v13, v72, v63 dst_sel:DWORD dst_unused:UNUSED_PAD src0_sel:DWORD src1_sel:BYTE_0
	v_add3_u32 v60, v6, v13, v49
	v_mad_u32_u24 v6, v64, s6, 0
	v_lshlrev_b32_e32 v13, 2, v65
	v_mul_f32_e32 v78, v27, v36
	v_mul_f32_e32 v79, v28, v34
	;; [unrolled: 1-line block ×5, first 2 shown]
	v_add3_u32 v63, v6, v13, v49
	v_mad_u32_u24 v6, v66, s6, 0
	v_lshlrev_b32_e32 v13, 2, v67
	v_fma_f32 v78, v9, v35, -v78
	v_fma_f32 v79, v10, v33, -v79
	;; [unrolled: 1-line block ×5, first 2 shown]
	v_add3_u32 v64, v6, v13, v49
	v_mad_u32_u24 v6, v68, s6, 0
	v_lshlrev_b32_e32 v13, 2, v71
	v_sub_f32_e32 v78, v14, v78
	v_sub_f32_e32 v79, v15, v79
	;; [unrolled: 1-line block ×5, first 2 shown]
	v_add3_u32 v65, v6, v13, v49
	v_mad_u32_u24 v6, v73, s6, 0
	v_lshlrev_b32_e32 v13, 2, v74
	v_fma_f32 v14, v14, 2.0, -v78
	v_fma_f32 v15, v15, 2.0, -v79
	;; [unrolled: 1-line block ×5, first 2 shown]
	v_add3_u32 v66, v6, v13, v49
	v_lshlrev_b32_e32 v61, 2, v75
	ds_write2_b32 v60, v14, v78 offset1:34
	ds_write2_b32 v63, v15, v79 offset1:34
	ds_write2_b32 v64, v16, v80 offset1:34
	ds_write2_b32 v65, v17, v81 offset1:34
	ds_write2_b32 v66, v18, v82 offset1:34
	s_and_saveexec_b64 s[2:3], vcc
	s_cbranch_execz .LBB0_32
; %bb.31:
	v_mul_f32_e32 v13, v70, v32
	v_fma_f32 v13, v52, v31, -v13
	v_add3_u32 v6, 0, v61, v49
	v_sub_f32_e32 v13, v54, v13
	v_fma_f32 v14, v54, 2.0, -v13
	v_add_u32_e32 v6, 0xc00, v6
	ds_write2_b32 v6, v14, v13 offset0:184 offset1:218
.LBB0_32:
	s_or_b64 exec, exec, s[2:3]
	v_mul_f32_e32 v8, v8, v44
	v_mul_f32_e32 v13, v62, v42
	;; [unrolled: 1-line block ×6, first 2 shown]
	v_fmac_f32_e32 v8, v26, v43
	v_fmac_f32_e32 v13, v58, v41
	v_mul_f32_e32 v11, v11, v40
	v_fmac_f32_e32 v12, v30, v37
	v_fmac_f32_e32 v9, v27, v35
	;; [unrolled: 1-line block ×4, first 2 shown]
	v_sub_f32_e32 v40, v23, v8
	v_sub_f32_e32 v42, v24, v13
	v_fmac_f32_e32 v11, v29, v39
	v_sub_f32_e32 v33, v19, v12
	v_sub_f32_e32 v35, v20, v9
	;; [unrolled: 1-line block ×4, first 2 shown]
	v_fma_f32 v41, v23, 2.0, -v40
	v_fma_f32 v43, v24, 2.0, -v42
	v_add_u32_e32 v23, 0x400, v50
	v_add_u32_e32 v24, 0x800, v50
	v_add_u32_e32 v26, 0xa00, v50
	v_add_u32_e32 v25, 0x600, v50
	v_add_u32_e32 v28, 0x200, v50
	v_add_u32_e32 v27, 0xc00, v50
	v_sub_f32_e32 v29, v56, v11
	v_fma_f32 v34, v19, 2.0, -v33
	v_fma_f32 v36, v20, 2.0, -v35
	;; [unrolled: 1-line block ×4, first 2 shown]
	s_waitcnt lgkmcnt(0)
	s_barrier
	ds_read_b32 v22, v48
	ds_read2_b32 v[20:21], v23 offset0:84 offset1:152
	ds_read2_b32 v[12:13], v24 offset0:100 offset1:168
	;; [unrolled: 1-line block ×7, first 2 shown]
	v_lshlrev_b32_e32 v6, 1, v57
	v_fma_f32 v30, v56, 2.0, -v29
	s_waitcnt lgkmcnt(0)
	s_barrier
	ds_write2_b32 v55, v30, v29 offset1:34
	ds_write2_b32 v59, v34, v33 offset1:34
	;; [unrolled: 1-line block ×7, first 2 shown]
	s_and_saveexec_b64 s[2:3], vcc
	s_cbranch_execz .LBB0_34
; %bb.33:
	v_mul_f32_e32 v7, v52, v32
	v_fmac_f32_e32 v7, v70, v31
	v_sub_f32_e32 v7, v69, v7
	v_add3_u32 v30, 0, v61, v49
	v_fma_f32 v29, v69, 2.0, -v7
	v_add_u32_e32 v30, 0xc00, v30
	ds_write2_b32 v30, v29, v7 offset0:184 offset1:218
.LBB0_34:
	s_or_b64 exec, exec, s[2:3]
	v_mov_b32_e32 v7, 0
	v_lshlrev_b64 v[29:30], 3, v[6:7]
	v_mov_b32_e32 v6, s13
	v_add_co_u32_e32 v29, vcc, s12, v29
	s_movk_i32 s2, 0x79
	v_addc_co_u32_e32 v30, vcc, v6, v30, vcc
	v_mul_lo_u16_sdwa v6, v47, s2 dst_sel:DWORD dst_unused:UNUSED_PAD src0_sel:BYTE_0 src1_sel:DWORD
	v_lshrrev_b16_e32 v6, 13, v6
	v_mul_lo_u16_e32 v6, 0x44, v6
	v_sub_u16_e32 v6, v47, v6
	v_mov_b32_e32 v33, 4
	s_mov_b32 s2, 0xf0f1
	s_waitcnt lgkmcnt(0)
	s_barrier
	global_load_dwordx4 v[29:32], v[29:30], off offset:528
	v_lshlrev_b32_sdwa v33, v33, v6 dst_sel:DWORD dst_unused:UNUSED_PAD src0_sel:DWORD src1_sel:BYTE_0
	v_mul_u32_u24_sdwa v37, v53, s2 dst_sel:DWORD dst_unused:UNUSED_PAD src0_sel:WORD_0 src1_sel:DWORD
	global_load_dwordx4 v[33:36], v33, s[12:13] offset:528
	v_lshrrev_b32_e32 v37, 22, v37
	v_mul_lo_u16_e32 v37, 0x44, v37
	v_sub_u16_e32 v64, v53, v37
	v_lshlrev_b32_e32 v37, 4, v64
	v_mul_u32_u24_sdwa v38, v51, s2 dst_sel:DWORD dst_unused:UNUSED_PAD src0_sel:WORD_0 src1_sel:DWORD
	v_lshrrev_b32_e32 v41, 22, v38
	global_load_dwordx4 v[37:40], v37, s[12:13] offset:528
	v_mul_lo_u16_e32 v41, 0x44, v41
	v_sub_u16_e32 v65, v51, v41
	v_lshlrev_b32_e32 v41, 4, v65
	global_load_dwordx4 v[41:44], v41, s[12:13] offset:528
	ds_read_b32 v66, v48
	ds_read2_b32 v[45:46], v23 offset0:84 offset1:152
	ds_read2_b32 v[51:52], v24 offset0:100 offset1:168
	;; [unrolled: 1-line block ×7, first 2 shown]
	s_waitcnt vmcnt(0) lgkmcnt(0)
	s_barrier
	v_mul_f32_e32 v67, v45, v30
	v_mul_f32_e32 v68, v20, v30
	;; [unrolled: 1-line block ×8, first 2 shown]
	v_fma_f32 v20, v20, v29, -v67
	v_fmac_f32_e32 v68, v45, v29
	v_fma_f32 v13, v13, v31, -v69
	v_fmac_f32_e32 v70, v52, v31
	;; [unrolled: 2-line block ×4, first 2 shown]
	v_mul_f32_e32 v29, v58, v34
	v_mul_f32_e32 v31, v16, v34
	;; [unrolled: 1-line block ×4, first 2 shown]
	v_fma_f32 v19, v19, v35, -v34
	v_fmac_f32_e32 v36, v56, v35
	v_add_f32_e32 v35, v68, v70
	v_add_f32_e32 v67, v22, v20
	;; [unrolled: 1-line block ×3, first 2 shown]
	v_fmac_f32_e32 v66, -0.5, v35
	v_add_f32_e32 v69, v20, v13
	v_fma_f32 v16, v16, v33, -v29
	v_add_f32_e32 v29, v67, v13
	v_sub_f32_e32 v13, v20, v13
	v_mov_b32_e32 v35, v66
	v_add_f32_e32 v20, v21, v18
	v_mul_f32_e32 v45, v59, v38
	v_mul_f32_e32 v38, v17, v38
	v_fmac_f32_e32 v35, 0xbf5db3d7, v13
	v_fmac_f32_e32 v66, 0x3f5db3d7, v13
	v_add_f32_e32 v13, v10, v21
	v_fma_f32 v10, -0.5, v20, v10
	v_fma_f32 v17, v17, v37, -v45
	v_fmac_f32_e32 v38, v59, v37
	v_sub_f32_e32 v20, v30, v32
	v_mov_b32_e32 v37, v10
	v_mul_f32_e32 v46, v62, v40
	v_mul_f32_e32 v40, v14, v40
	v_fmac_f32_e32 v37, 0x3f5db3d7, v20
	v_fmac_f32_e32 v10, 0xbf5db3d7, v20
	v_add_f32_e32 v20, v53, v30
	v_fma_f32 v14, v14, v39, -v46
	v_fmac_f32_e32 v40, v62, v39
	v_add_f32_e32 v39, v20, v32
	v_add_f32_e32 v20, v30, v32
	v_fma_f32 v30, -0.5, v20, v53
	v_add_f32_e32 v13, v13, v18
	v_sub_f32_e32 v18, v21, v18
	v_mov_b32_e32 v32, v30
	v_add_f32_e32 v20, v16, v19
	v_fmac_f32_e32 v31, v58, v33
	v_fmac_f32_e32 v32, 0xbf5db3d7, v18
	;; [unrolled: 1-line block ×3, first 2 shown]
	v_add_f32_e32 v18, v11, v16
	v_fmac_f32_e32 v11, -0.5, v20
	v_sub_f32_e32 v20, v31, v36
	v_mov_b32_e32 v21, v11
	v_mul_f32_e32 v52, v51, v42
	v_mul_f32_e32 v42, v12, v42
	v_fmac_f32_e32 v21, 0x3f5db3d7, v20
	v_fmac_f32_e32 v11, 0xbf5db3d7, v20
	v_add_f32_e32 v20, v54, v31
	v_fma_f32 v12, v12, v41, -v52
	v_fmac_f32_e32 v42, v51, v41
	v_add_f32_e32 v41, v20, v36
	v_add_f32_e32 v20, v31, v36
	v_fmac_f32_e32 v54, -0.5, v20
	v_add_f32_e32 v18, v18, v19
	v_sub_f32_e32 v16, v16, v19
	v_mov_b32_e32 v31, v54
	v_add_f32_e32 v19, v17, v14
	v_fmac_f32_e32 v31, 0xbf5db3d7, v16
	v_fmac_f32_e32 v54, 0x3f5db3d7, v16
	v_add_f32_e32 v16, v8, v17
	v_fma_f32 v8, -0.5, v19, v8
	v_sub_f32_e32 v19, v38, v40
	v_mov_b32_e32 v20, v8
	v_fmac_f32_e32 v22, -0.5, v69
	v_fmac_f32_e32 v20, 0x3f5db3d7, v19
	v_fmac_f32_e32 v8, 0xbf5db3d7, v19
	v_add_f32_e32 v19, v60, v38
	v_mul_f32_e32 v55, v63, v44
	v_sub_f32_e32 v71, v68, v70
	v_mov_b32_e32 v34, v22
	v_add_f32_e32 v36, v19, v40
	v_add_f32_e32 v19, v38, v40
	v_mul_f32_e32 v44, v15, v44
	v_fma_f32 v15, v15, v43, -v55
	v_fmac_f32_e32 v34, 0x3f5db3d7, v71
	v_fma_f32 v38, -0.5, v19, v60
	v_fmac_f32_e32 v22, 0xbf5db3d7, v71
	v_add_f32_e32 v16, v16, v14
	v_sub_f32_e32 v14, v17, v14
	v_mov_b32_e32 v40, v38
	v_add_f32_e32 v17, v12, v15
	ds_write2_b32 v50, v29, v34 offset1:68
	ds_write2_b32 v50, v22, v13 offset0:136 offset1:204
	ds_write2_b32 v23, v37, v10 offset0:16 offset1:84
	v_mov_b32_e32 v10, 2
	v_fmac_f32_e32 v44, v63, v43
	v_fmac_f32_e32 v40, 0xbf5db3d7, v14
	;; [unrolled: 1-line block ×3, first 2 shown]
	v_add_f32_e32 v14, v9, v12
	v_fmac_f32_e32 v9, -0.5, v17
	v_lshlrev_b32_sdwa v6, v10, v6 dst_sel:DWORD dst_unused:UNUSED_PAD src0_sel:DWORD src1_sel:BYTE_0
	v_lshlrev_b32_e32 v10, 2, v64
	v_sub_f32_e32 v17, v42, v44
	v_mov_b32_e32 v19, v9
	v_add3_u32 v6, 0, v6, v49
	v_add3_u32 v34, 0, v10, v49
	v_fmac_f32_e32 v19, 0x3f5db3d7, v17
	v_fmac_f32_e32 v9, 0xbf5db3d7, v17
	v_add_f32_e32 v17, v61, v42
	v_add_u32_e32 v29, 0x400, v6
	v_add_u32_e32 v37, 0x800, v34
	v_add_f32_e32 v43, v17, v44
	v_add_f32_e32 v17, v42, v44
	ds_write2_b32 v29, v18, v21 offset0:152 offset1:220
	ds_write_b32 v6, v11 offset:2176
	ds_write2_b32 v37, v16, v20 offset0:100 offset1:168
	ds_write_b32 v34, v8 offset:2992
	v_lshlrev_b32_e32 v8, 2, v65
	v_fmac_f32_e32 v61, -0.5, v17
	v_add3_u32 v44, 0, v8, v49
	v_add_f32_e32 v14, v14, v15
	v_sub_f32_e32 v12, v12, v15
	v_mov_b32_e32 v42, v61
	v_add_u32_e32 v45, 0xc00, v44
	v_fmac_f32_e32 v42, 0xbf5db3d7, v12
	v_fmac_f32_e32 v61, 0x3f5db3d7, v12
	ds_write2_b32 v45, v14, v19 offset0:48 offset1:116
	ds_write_b32 v44, v9 offset:3808
	s_waitcnt lgkmcnt(0)
	s_barrier
	ds_read_b32 v22, v48
	ds_read2_b32 v[10:11], v28 offset0:76 offset1:144
	ds_read2_b32 v[14:15], v23 offset0:84 offset1:152
	;; [unrolled: 1-line block ×7, first 2 shown]
	v_add_f32_e32 v33, v72, v70
	s_waitcnt lgkmcnt(0)
	s_barrier
	ds_write2_b32 v50, v33, v35 offset1:68
	ds_write2_b32 v50, v66, v39 offset0:136 offset1:204
	ds_write2_b32 v23, v32, v30 offset0:16 offset1:84
	;; [unrolled: 1-line block ×3, first 2 shown]
	ds_write_b32 v6, v54 offset:2176
	ds_write2_b32 v37, v36, v40 offset0:100 offset1:168
	ds_write_b32 v34, v38 offset:2992
	ds_write2_b32 v45, v43, v42 offset0:48 offset1:116
	ds_write_b32 v44, v61 offset:3808
	s_waitcnt lgkmcnt(0)
	s_barrier
	s_and_saveexec_b64 s[2:3], s[0:1]
	s_cbranch_execz .LBB0_36
; %bb.35:
	v_lshlrev_b32_e32 v6, 2, v47
	v_lshlrev_b64 v[23:24], 3, v[6:7]
	v_mov_b32_e32 v49, s13
	v_add_co_u32_e32 v31, vcc, s12, v23
	v_addc_co_u32_e32 v32, vcc, v49, v24, vcc
	global_load_dwordx4 v[23:26], v[31:32], off offset:1616
	global_load_dwordx4 v[27:30], v[31:32], off offset:1632
	v_mul_lo_u32 v47, s5, v3
	v_mul_lo_u32 v55, s4, v4
	v_mad_u64_u32 v[39:40], s[0:1], s4, v3, 0
	v_add_u32_e32 v3, 0x400, v50
	v_add_u32_e32 v4, 0x600, v50
	v_lshlrev_b32_e32 v6, 2, v0
	ds_read2_b32 v[41:42], v50 offset0:68 offset1:136
	ds_read2_b32 v[43:44], v3 offset0:84 offset1:152
	;; [unrolled: 1-line block ×3, first 2 shown]
	v_lshlrev_b64 v[3:4], 3, v[6:7]
	v_add_u32_e32 v51, 0xc00, v50
	v_add_co_u32_e32 v3, vcc, s12, v3
	v_addc_co_u32_e32 v4, vcc, v49, v4, vcc
	global_load_dwordx4 v[31:34], v[3:4], off offset:1632
	global_load_dwordx4 v[35:38], v[3:4], off offset:1616
	v_add_u32_e32 v53, 0xa00, v50
	ds_read2_b32 v[51:52], v51 offset0:116 offset1:184
	ds_read2_b32 v[53:54], v53 offset0:108 offset1:176
	v_add3_u32 v40, v40, v55, v47
	s_mov_b32 s2, 0xa0a0a0a1
	s_movk_i32 s3, 0xcc
	s_movk_i32 s0, 0x1000
	;; [unrolled: 1-line block ×3, first 2 shown]
	s_waitcnt vmcnt(3)
	v_mul_f32_e32 v0, v14, v24
	v_mul_f32_e32 v3, v19, v26
	s_waitcnt vmcnt(2)
	v_mul_f32_e32 v6, v21, v30
	v_mul_f32_e32 v55, v8, v28
	s_waitcnt lgkmcnt(2)
	v_mul_f32_e32 v4, v46, v26
	s_waitcnt lgkmcnt(0)
	v_mul_f32_e32 v26, v53, v28
	v_mul_f32_e32 v24, v43, v24
	;; [unrolled: 1-line block ×3, first 2 shown]
	v_fmac_f32_e32 v0, v43, v23
	v_fmac_f32_e32 v3, v46, v25
	;; [unrolled: 1-line block ×4, first 2 shown]
	v_fma_f32 v19, v19, v25, -v4
	v_fma_f32 v4, v14, v23, -v24
	;; [unrolled: 1-line block ×3, first 2 shown]
	v_sub_f32_e32 v21, v0, v3
	v_sub_f32_e32 v30, v0, v6
	;; [unrolled: 1-line block ×3, first 2 shown]
	v_add_f32_e32 v53, v0, v6
	v_add_f32_e32 v0, v0, v42
	v_fma_f32 v8, v8, v27, -v26
	v_add_f32_e32 v0, v3, v0
	v_sub_f32_e32 v23, v6, v55
	v_sub_f32_e32 v27, v4, v19
	;; [unrolled: 1-line block ×5, first 2 shown]
	v_add_f32_e32 v0, v55, v0
	v_add_f32_e32 v26, v3, v55
	;; [unrolled: 1-line block ×3, first 2 shown]
	v_sub_f32_e32 v52, v55, v6
	v_add_f32_e32 v60, v4, v14
	v_add_f32_e32 v21, v21, v23
	;; [unrolled: 1-line block ×5, first 2 shown]
	v_mov_b32_e32 v6, v7
	v_fma_f32 v47, -0.5, v26, v42
	v_fma_f32 v46, -0.5, v29, v17
	v_add_f32_e32 v26, v43, v52
	v_fma_f32 v43, -0.5, v53, v42
	v_fma_f32 v42, -0.5, v60, v17
	v_lshlrev_b64 v[5:6], 3, v[5:6]
	v_sub_f32_e32 v24, v19, v8
	v_sub_f32_e32 v58, v3, v55
	v_mov_b32_e32 v3, v46
	v_mov_b32_e32 v53, v43
	;; [unrolled: 1-line block ×3, first 2 shown]
	v_sub_f32_e32 v25, v4, v14
	v_add_f32_e32 v61, v17, v4
	v_mov_b32_e32 v4, v47
	v_fmac_f32_e32 v3, 0xbf737871, v30
	v_fmac_f32_e32 v53, 0x3f737871, v24
	;; [unrolled: 1-line block ×6, first 2 shown]
	v_add_co_u32_e32 v5, vcc, s12, v5
	v_fmac_f32_e32 v4, 0x3f737871, v25
	v_fmac_f32_e32 v3, 0xbf167918, v58
	;; [unrolled: 1-line block ×8, first 2 shown]
	v_addc_co_u32_e32 v6, vcc, v49, v6, vcc
	v_fmac_f32_e32 v4, 0x3f167918, v24
	v_fmac_f32_e32 v3, 0x3e9e377a, v23
	;; [unrolled: 1-line block ×8, first 2 shown]
	global_load_dwordx4 v[23:26], v[5:6], off offset:1632
	global_load_dwordx4 v[27:30], v[5:6], off offset:1616
	v_add_f32_e32 v0, v61, v19
	v_add_f32_e32 v0, v0, v8
	v_add_u32_e32 v5, 0x200, v50
	v_add_u32_e32 v8, 0x800, v50
	ds_read2_b32 v[5:6], v5 offset0:76 offset1:144
	ds_read2_b32 v[49:50], v8 offset0:100 offset1:168
	v_fmac_f32_e32 v4, 0x3e9e377a, v21
	v_add_f32_e32 v55, v14, v0
	v_fmac_f32_e32 v47, 0x3e9e377a, v21
	s_waitcnt vmcnt(2)
	v_mul_f32_e32 v0, v18, v38
	v_mul_f32_e32 v8, v11, v36
	;; [unrolled: 1-line block ×4, first 2 shown]
	v_fmac_f32_e32 v0, v45, v37
	s_waitcnt lgkmcnt(1)
	v_fmac_f32_e32 v8, v6, v35
	s_waitcnt lgkmcnt(0)
	v_fmac_f32_e32 v21, v50, v31
	v_fmac_f32_e32 v58, v51, v33
	v_sub_f32_e32 v14, v0, v8
	v_sub_f32_e32 v17, v21, v58
	v_mul_f32_e32 v6, v6, v36
	v_add_f32_e32 v19, v14, v17
	v_fma_f32 v6, v11, v35, -v6
	v_mul_f32_e32 v11, v51, v34
	v_mul_f32_e32 v17, v45, v38
	v_fma_f32 v11, v20, v33, -v11
	v_fma_f32 v33, v18, v37, -v17
	v_mul_f32_e32 v17, v50, v32
	v_fma_f32 v36, v13, v31, -v17
	v_sub_f32_e32 v13, v33, v6
	v_sub_f32_e32 v17, v36, v11
	v_add_f32_e32 v14, v8, v58
	v_add_f32_e32 v20, v13, v17
	;; [unrolled: 1-line block ×3, first 2 shown]
	v_fma_f32 v14, -0.5, v14, v41
	v_fma_f32 v13, -0.5, v13, v16
	v_sub_f32_e32 v37, v33, v36
	v_mov_b32_e32 v18, v14
	v_sub_f32_e32 v38, v0, v21
	v_mov_b32_e32 v17, v13
	v_sub_f32_e32 v35, v6, v11
	v_fmac_f32_e32 v18, 0xbf737871, v37
	v_fmac_f32_e32 v17, 0x3f737871, v38
	v_sub_f32_e32 v45, v8, v58
	v_fmac_f32_e32 v14, 0x3f737871, v37
	v_fmac_f32_e32 v13, 0xbf737871, v38
	;; [unrolled: 1-line block ×10, first 2 shown]
	v_sub_f32_e32 v19, v8, v0
	v_sub_f32_e32 v20, v58, v21
	v_add_f32_e32 v8, v8, v41
	v_add_f32_e32 v50, v19, v20
	;; [unrolled: 1-line block ×7, first 2 shown]
	v_fma_f32 v20, -0.5, v19, v41
	v_add_f32_e32 v0, v33, v0
	v_mov_b32_e32 v32, v20
	v_sub_f32_e32 v19, v6, v33
	v_sub_f32_e32 v31, v11, v36
	v_add_f32_e32 v0, v0, v36
	v_fmac_f32_e32 v32, 0xbf737871, v35
	v_add_f32_e32 v51, v19, v31
	v_add_f32_e32 v19, v33, v36
	;; [unrolled: 1-line block ×3, first 2 shown]
	v_fmac_f32_e32 v20, 0x3f737871, v35
	v_fmac_f32_e32 v32, 0xbf167918, v37
	;; [unrolled: 1-line block ×3, first 2 shown]
	v_fma_f32 v19, -0.5, v19, v16
	v_mov_b32_e32 v31, v19
	v_fmac_f32_e32 v31, 0x3f737871, v45
	s_waitcnt vmcnt(1)
	v_mul_f32_e32 v35, v9, v26
	s_waitcnt vmcnt(0)
	v_mul_f32_e32 v0, v10, v28
	v_mul_f32_e32 v21, v15, v30
	v_mul_f32_e32 v36, v12, v24
	v_fmac_f32_e32 v0, v5, v27
	v_fmac_f32_e32 v21, v44, v29
	v_fmac_f32_e32 v35, v54, v25
	v_fmac_f32_e32 v36, v49, v23
	v_sub_f32_e32 v6, v0, v21
	v_sub_f32_e32 v8, v35, v36
	v_add_f32_e32 v37, v6, v8
	v_mul_f32_e32 v6, v44, v30
	v_mul_f32_e32 v5, v5, v28
	v_fma_f32 v29, v15, v29, -v6
	v_mul_f32_e32 v6, v49, v24
	v_fma_f32 v24, v10, v27, -v5
	ds_read_b32 v27, v48
	v_sub_f32_e32 v10, v21, v0
	v_sub_f32_e32 v11, v36, v35
	v_fmac_f32_e32 v19, 0xbf737871, v45
	v_mul_f32_e32 v5, v54, v26
	v_sub_f32_e32 v30, v0, v35
	v_add_f32_e32 v41, v10, v11
	v_add_f32_e32 v10, v0, v35
	s_waitcnt lgkmcnt(0)
	v_add_f32_e32 v0, v0, v27
	v_fmac_f32_e32 v31, 0x3f167918, v38
	v_fmac_f32_e32 v19, 0xbf167918, v38
	v_fma_f32 v25, v9, v25, -v5
	v_add_f32_e32 v5, v21, v36
	v_sub_f32_e32 v38, v21, v36
	v_add_f32_e32 v0, v21, v0
	v_mul_hi_u32 v21, v57, s2
	v_fma_f32 v12, v12, v23, -v6
	v_fma_f32 v6, -0.5, v5, v27
	v_sub_f32_e32 v26, v24, v25
	v_mov_b32_e32 v9, v6
	v_fma_f32 v11, -0.5, v10, v27
	v_sub_f32_e32 v23, v29, v12
	v_fmac_f32_e32 v9, 0x3f737871, v26
	v_mov_b32_e32 v16, v11
	v_fmac_f32_e32 v6, 0xbf737871, v26
	v_add_f32_e32 v0, v36, v0
	v_fmac_f32_e32 v9, 0x3f167918, v23
	v_fmac_f32_e32 v16, 0xbf737871, v23
	;; [unrolled: 1-line block ×4, first 2 shown]
	v_add_f32_e32 v23, v35, v0
	v_add_f32_e32 v0, v22, v24
	v_lshrrev_b32_e32 v21, 7, v21
	v_sub_f32_e32 v5, v24, v29
	v_sub_f32_e32 v8, v25, v12
	;; [unrolled: 1-line block ×4, first 2 shown]
	v_mul_lo_u32 v21, v21, s3
	v_add_f32_e32 v0, v0, v29
	v_add_f32_e32 v28, v5, v8
	;; [unrolled: 1-line block ×6, first 2 shown]
	v_fma_f32 v5, -0.5, v5, v22
	v_fma_f32 v10, -0.5, v10, v22
	v_add_f32_e32 v22, v25, v0
	v_lshlrev_b64 v[24:25], 3, v[39:40]
	v_sub_u32_e32 v12, v57, v21
	v_mov_b32_e32 v0, s11
	v_add_co_u32_e32 v21, vcc, s10, v24
	v_addc_co_u32_e32 v24, vcc, v0, v25, vcc
	v_lshlrev_b64 v[0:1], 3, v[1:2]
	v_add_u32_e32 v2, 0x44, v57
	v_add_co_u32_e32 v21, vcc, v21, v0
	v_lshlrev_b32_e32 v0, 3, v12
	v_mul_hi_u32 v12, v2, s2
	v_mov_b32_e32 v8, v5
	v_fmac_f32_e32 v5, 0x3f737871, v30
	v_addc_co_u32_e32 v24, vcc, v24, v1, vcc
	v_mov_b32_e32 v15, v10
	v_fmac_f32_e32 v10, 0xbf737871, v38
	v_fmac_f32_e32 v5, 0x3f167918, v38
	v_add_co_u32_e32 v0, vcc, v21, v0
	v_fmac_f32_e32 v11, 0xbf167918, v26
	v_fmac_f32_e32 v10, 0x3f167918, v30
	;; [unrolled: 1-line block ×4, first 2 shown]
	v_addc_co_u32_e32 v1, vcc, 0, v24, vcc
	v_fmac_f32_e32 v11, 0x3e9e377a, v41
	v_fmac_f32_e32 v10, 0x3e9e377a, v44
	global_store_dwordx2 v[0:1], v[22:23], off
	global_store_dwordx2 v[0:1], v[5:6], off offset:1632
	global_store_dwordx2 v[0:1], v[10:11], off offset:3264
	v_lshrrev_b32_e32 v5, 7, v12
	v_mul_lo_u32 v6, v5, s3
	v_add_co_u32_e32 v0, vcc, s0, v0
	v_fmac_f32_e32 v15, 0x3f737871, v38
	v_sub_u32_e32 v2, v2, v6
	v_mad_u64_u32 v[5:6], s[0:1], v5, s4, v[2:3]
	v_fmac_f32_e32 v8, 0xbf737871, v30
	v_fmac_f32_e32 v16, 0x3f167918, v26
	;; [unrolled: 1-line block ×6, first 2 shown]
	v_addc_co_u32_e32 v1, vcc, 0, v1, vcc
	v_mov_b32_e32 v6, v7
	v_fmac_f32_e32 v9, 0x3e9e377a, v37
	v_fmac_f32_e32 v8, 0x3e9e377a, v28
	global_store_dwordx2 v[0:1], v[15:16], off offset:800
	global_store_dwordx2 v[0:1], v[8:9], off offset:2432
	v_lshlrev_b64 v[0:1], 3, v[5:6]
	v_add_u32_e32 v6, 0xcc, v5
	v_add_co_u32_e32 v0, vcc, v21, v0
	v_addc_co_u32_e32 v1, vcc, v24, v1, vcc
	global_store_dwordx2 v[0:1], v[33:34], off
	v_lshlrev_b64 v[0:1], 3, v[6:7]
	v_fmac_f32_e32 v32, 0x3e9e377a, v50
	v_add_co_u32_e32 v0, vcc, v21, v0
	v_fmac_f32_e32 v31, 0x3e9e377a, v51
	v_addc_co_u32_e32 v1, vcc, v24, v1, vcc
	v_add_u32_e32 v6, 0x198, v5
	global_store_dwordx2 v[0:1], v[31:32], off
	v_lshlrev_b64 v[0:1], 3, v[6:7]
	v_add_u32_e32 v6, 0x264, v5
	v_add_co_u32_e32 v0, vcc, v21, v0
	v_addc_co_u32_e32 v1, vcc, v24, v1, vcc
	v_add_u32_e32 v2, 0x88, v57
	global_store_dwordx2 v[0:1], v[13:14], off
	v_lshlrev_b64 v[0:1], 3, v[6:7]
	v_mul_hi_u32 v6, v2, s2
	v_add_co_u32_e32 v0, vcc, v21, v0
	v_addc_co_u32_e32 v1, vcc, v24, v1, vcc
	v_lshrrev_b32_e32 v8, 7, v6
	v_mul_lo_u32 v9, v8, s3
	v_add_u32_e32 v6, 0x330, v5
	global_store_dwordx2 v[0:1], v[17:18], off
	v_lshlrev_b64 v[0:1], 3, v[6:7]
	v_sub_u32_e32 v2, v2, v9
	v_mad_u64_u32 v[5:6], s[0:1], v8, s4, v[2:3]
	v_add_co_u32_e32 v0, vcc, v21, v0
	v_fmac_f32_e32 v20, 0x3e9e377a, v50
	v_fmac_f32_e32 v19, 0x3e9e377a, v51
	v_addc_co_u32_e32 v1, vcc, v24, v1, vcc
	v_mov_b32_e32 v6, v7
	global_store_dwordx2 v[0:1], v[19:20], off
	v_lshlrev_b64 v[0:1], 3, v[5:6]
	v_add_u32_e32 v6, 0xcc, v5
	v_add_co_u32_e32 v0, vcc, v21, v0
	v_addc_co_u32_e32 v1, vcc, v24, v1, vcc
	global_store_dwordx2 v[0:1], v[55:56], off
	v_lshlrev_b64 v[0:1], 3, v[6:7]
	v_add_u32_e32 v6, 0x198, v5
	v_add_co_u32_e32 v0, vcc, v21, v0
	v_addc_co_u32_e32 v1, vcc, v24, v1, vcc
	;; [unrolled: 5-line block ×4, first 2 shown]
	global_store_dwordx2 v[0:1], v[42:43], off
	v_lshlrev_b64 v[0:1], 3, v[6:7]
	v_add_co_u32_e32 v0, vcc, v21, v0
	v_addc_co_u32_e32 v1, vcc, v24, v1, vcc
	global_store_dwordx2 v[0:1], v[3:4], off
.LBB0_36:
	s_endpgm
	.section	.rodata,"a",@progbits
	.p2align	6, 0x0
	.amdhsa_kernel fft_rtc_fwd_len1020_factors_2_17_2_3_5_wgs_204_tpt_68_halfLds_sp_op_CI_CI_unitstride_sbrr_dirReg
		.amdhsa_group_segment_fixed_size 0
		.amdhsa_private_segment_fixed_size 0
		.amdhsa_kernarg_size 104
		.amdhsa_user_sgpr_count 6
		.amdhsa_user_sgpr_private_segment_buffer 1
		.amdhsa_user_sgpr_dispatch_ptr 0
		.amdhsa_user_sgpr_queue_ptr 0
		.amdhsa_user_sgpr_kernarg_segment_ptr 1
		.amdhsa_user_sgpr_dispatch_id 0
		.amdhsa_user_sgpr_flat_scratch_init 0
		.amdhsa_user_sgpr_private_segment_size 0
		.amdhsa_uses_dynamic_stack 0
		.amdhsa_system_sgpr_private_segment_wavefront_offset 0
		.amdhsa_system_sgpr_workgroup_id_x 1
		.amdhsa_system_sgpr_workgroup_id_y 0
		.amdhsa_system_sgpr_workgroup_id_z 0
		.amdhsa_system_sgpr_workgroup_info 0
		.amdhsa_system_vgpr_workitem_id 0
		.amdhsa_next_free_vgpr 118
		.amdhsa_next_free_sgpr 28
		.amdhsa_reserve_vcc 1
		.amdhsa_reserve_flat_scratch 0
		.amdhsa_float_round_mode_32 0
		.amdhsa_float_round_mode_16_64 0
		.amdhsa_float_denorm_mode_32 3
		.amdhsa_float_denorm_mode_16_64 3
		.amdhsa_dx10_clamp 1
		.amdhsa_ieee_mode 1
		.amdhsa_fp16_overflow 0
		.amdhsa_exception_fp_ieee_invalid_op 0
		.amdhsa_exception_fp_denorm_src 0
		.amdhsa_exception_fp_ieee_div_zero 0
		.amdhsa_exception_fp_ieee_overflow 0
		.amdhsa_exception_fp_ieee_underflow 0
		.amdhsa_exception_fp_ieee_inexact 0
		.amdhsa_exception_int_div_zero 0
	.end_amdhsa_kernel
	.text
.Lfunc_end0:
	.size	fft_rtc_fwd_len1020_factors_2_17_2_3_5_wgs_204_tpt_68_halfLds_sp_op_CI_CI_unitstride_sbrr_dirReg, .Lfunc_end0-fft_rtc_fwd_len1020_factors_2_17_2_3_5_wgs_204_tpt_68_halfLds_sp_op_CI_CI_unitstride_sbrr_dirReg
                                        ; -- End function
	.section	.AMDGPU.csdata,"",@progbits
; Kernel info:
; codeLenInByte = 12780
; NumSgprs: 32
; NumVgprs: 118
; ScratchSize: 0
; MemoryBound: 0
; FloatMode: 240
; IeeeMode: 1
; LDSByteSize: 0 bytes/workgroup (compile time only)
; SGPRBlocks: 3
; VGPRBlocks: 29
; NumSGPRsForWavesPerEU: 32
; NumVGPRsForWavesPerEU: 118
; Occupancy: 2
; WaveLimiterHint : 1
; COMPUTE_PGM_RSRC2:SCRATCH_EN: 0
; COMPUTE_PGM_RSRC2:USER_SGPR: 6
; COMPUTE_PGM_RSRC2:TRAP_HANDLER: 0
; COMPUTE_PGM_RSRC2:TGID_X_EN: 1
; COMPUTE_PGM_RSRC2:TGID_Y_EN: 0
; COMPUTE_PGM_RSRC2:TGID_Z_EN: 0
; COMPUTE_PGM_RSRC2:TIDIG_COMP_CNT: 0
	.type	__hip_cuid_215f68ed1409a881,@object ; @__hip_cuid_215f68ed1409a881
	.section	.bss,"aw",@nobits
	.globl	__hip_cuid_215f68ed1409a881
__hip_cuid_215f68ed1409a881:
	.byte	0                               ; 0x0
	.size	__hip_cuid_215f68ed1409a881, 1

	.ident	"AMD clang version 19.0.0git (https://github.com/RadeonOpenCompute/llvm-project roc-6.4.0 25133 c7fe45cf4b819c5991fe208aaa96edf142730f1d)"
	.section	".note.GNU-stack","",@progbits
	.addrsig
	.addrsig_sym __hip_cuid_215f68ed1409a881
	.amdgpu_metadata
---
amdhsa.kernels:
  - .args:
      - .actual_access:  read_only
        .address_space:  global
        .offset:         0
        .size:           8
        .value_kind:     global_buffer
      - .offset:         8
        .size:           8
        .value_kind:     by_value
      - .actual_access:  read_only
        .address_space:  global
        .offset:         16
        .size:           8
        .value_kind:     global_buffer
      - .actual_access:  read_only
        .address_space:  global
        .offset:         24
        .size:           8
        .value_kind:     global_buffer
      - .actual_access:  read_only
        .address_space:  global
        .offset:         32
        .size:           8
        .value_kind:     global_buffer
      - .offset:         40
        .size:           8
        .value_kind:     by_value
      - .actual_access:  read_only
        .address_space:  global
        .offset:         48
        .size:           8
        .value_kind:     global_buffer
      - .actual_access:  read_only
        .address_space:  global
        .offset:         56
        .size:           8
        .value_kind:     global_buffer
      - .offset:         64
        .size:           4
        .value_kind:     by_value
      - .actual_access:  read_only
        .address_space:  global
        .offset:         72
        .size:           8
        .value_kind:     global_buffer
      - .actual_access:  read_only
        .address_space:  global
        .offset:         80
        .size:           8
        .value_kind:     global_buffer
      - .actual_access:  read_only
        .address_space:  global
        .offset:         88
        .size:           8
        .value_kind:     global_buffer
      - .actual_access:  write_only
        .address_space:  global
        .offset:         96
        .size:           8
        .value_kind:     global_buffer
    .group_segment_fixed_size: 0
    .kernarg_segment_align: 8
    .kernarg_segment_size: 104
    .language:       OpenCL C
    .language_version:
      - 2
      - 0
    .max_flat_workgroup_size: 204
    .name:           fft_rtc_fwd_len1020_factors_2_17_2_3_5_wgs_204_tpt_68_halfLds_sp_op_CI_CI_unitstride_sbrr_dirReg
    .private_segment_fixed_size: 0
    .sgpr_count:     32
    .sgpr_spill_count: 0
    .symbol:         fft_rtc_fwd_len1020_factors_2_17_2_3_5_wgs_204_tpt_68_halfLds_sp_op_CI_CI_unitstride_sbrr_dirReg.kd
    .uniform_work_group_size: 1
    .uses_dynamic_stack: false
    .vgpr_count:     118
    .vgpr_spill_count: 0
    .wavefront_size: 64
amdhsa.target:   amdgcn-amd-amdhsa--gfx906
amdhsa.version:
  - 1
  - 2
...

	.end_amdgpu_metadata
